;; amdgpu-corpus repo=ROCm/Tensile kind=harvested arch=n/a opt=n/a

/******************************************/
/* Function Prefix                        */
/******************************************/



/******************************************/
/* Begin Kernel                           */
/******************************************/

// Component.Signature.SignatureDefault
.amdgcn_target "amdgcn-amd-amdhsa--gfx90a"
.text
.protected Cijk_Ailk_BjlkC_ZB_MT128x64x8_MI16x16x4x1_SN_1LDSB0_APM1_ABV0_ACED0_AF0EM1_AF1EM1_AMAS0_ASE_ASGT_ASLT_ASEM1_AAC0_BL0_BS0_CLR0_DTVA1_DVO0_ETSP_EPS1_EMLL0_FL0_GLVWA1_GLVWB1_GRPM1_GRVW1_GSU1_GSUASB_GLS0_ISA90a_IU1_K1_KLA_LBSPPA0_LBSPPB0_LPA0_LPB0_LDL1_LRVW1_LWPMn1_LDW0_FMA_MIAV1_MO40_MMFGLC_NTA0_NTB0_NTC0_NTD0_NEPBS1_NLCA2_NLCB1_ONLL1_OPLV0_PK0_PAP0_PGR2_PLR3_SIA3_SS1_SU0_SUM0_SUS0_SCIUI1_SPO0_SRVW0_SSO0_SVW1_SNLL0_TSGRA0_TSGRB0_TT2_64_TLDS0_UMLDSA0_UMLDSB0_USFGROn1_VAW1_VSn1_VW1_VWB1_VFLRP0_WSGRA0_WSGRB0_WG64_4_1_WGM7
.globl Cijk_Ailk_BjlkC_ZB_MT128x64x8_MI16x16x4x1_SN_1LDSB0_APM1_ABV0_ACED0_AF0EM1_AF1EM1_AMAS0_ASE_ASGT_ASLT_ASEM1_AAC0_BL0_BS0_CLR0_DTVA1_DVO0_ETSP_EPS1_EMLL0_FL0_GLVWA1_GLVWB1_GRPM1_GRVW1_GSU1_GSUASB_GLS0_ISA90a_IU1_K1_KLA_LBSPPA0_LBSPPB0_LPA0_LPB0_LDL1_LRVW1_LWPMn1_LDW0_FMA_MIAV1_MO40_MMFGLC_NTA0_NTB0_NTC0_NTD0_NEPBS1_NLCA2_NLCB1_ONLL1_OPLV0_PK0_PAP0_PGR2_PLR3_SIA3_SS1_SU0_SUM0_SUS0_SCIUI1_SPO0_SRVW0_SSO0_SVW1_SNLL0_TSGRA0_TSGRB0_TT2_64_TLDS0_UMLDSA0_UMLDSB0_USFGROn1_VAW1_VSn1_VW1_VWB1_VFLRP0_WSGRA0_WSGRB0_WG64_4_1_WGM7
.p2align 8
.type Cijk_Ailk_BjlkC_ZB_MT128x64x8_MI16x16x4x1_SN_1LDSB0_APM1_ABV0_ACED0_AF0EM1_AF1EM1_AMAS0_ASE_ASGT_ASLT_ASEM1_AAC0_BL0_BS0_CLR0_DTVA1_DVO0_ETSP_EPS1_EMLL0_FL0_GLVWA1_GLVWB1_GRPM1_GRVW1_GSU1_GSUASB_GLS0_ISA90a_IU1_K1_KLA_LBSPPA0_LBSPPB0_LPA0_LPB0_LDL1_LRVW1_LWPMn1_LDW0_FMA_MIAV1_MO40_MMFGLC_NTA0_NTB0_NTC0_NTD0_NEPBS1_NLCA2_NLCB1_ONLL1_OPLV0_PK0_PAP0_PGR2_PLR3_SIA3_SS1_SU0_SUM0_SUS0_SCIUI1_SPO0_SRVW0_SSO0_SVW1_SNLL0_TSGRA0_TSGRB0_TT2_64_TLDS0_UMLDSA0_UMLDSB0_USFGROn1_VAW1_VSn1_VW1_VWB1_VFLRP0_WSGRA0_WSGRB0_WG64_4_1_WGM7,@function
.section .rodata,#alloc
.p2align 6
.amdhsa_kernel Cijk_Ailk_BjlkC_ZB_MT128x64x8_MI16x16x4x1_SN_1LDSB0_APM1_ABV0_ACED0_AF0EM1_AF1EM1_AMAS0_ASE_ASGT_ASLT_ASEM1_AAC0_BL0_BS0_CLR0_DTVA1_DVO0_ETSP_EPS1_EMLL0_FL0_GLVWA1_GLVWB1_GRPM1_GRVW1_GSU1_GSUASB_GLS0_ISA90a_IU1_K1_KLA_LBSPPA0_LBSPPB0_LPA0_LPB0_LDL1_LRVW1_LWPMn1_LDW0_FMA_MIAV1_MO40_MMFGLC_NTA0_NTB0_NTC0_NTD0_NEPBS1_NLCA2_NLCB1_ONLL1_OPLV0_PK0_PAP0_PGR2_PLR3_SIA3_SS1_SU0_SUM0_SUS0_SCIUI1_SPO0_SRVW0_SSO0_SVW1_SNLL0_TSGRA0_TSGRB0_TT2_64_TLDS0_UMLDSA0_UMLDSB0_USFGROn1_VAW1_VSn1_VW1_VWB1_VFLRP0_WSGRA0_WSGRB0_WG64_4_1_WGM7
  .amdhsa_user_sgpr_kernarg_segment_ptr 1
  .amdhsa_user_sgpr_kernarg_preload_offset 0
  .amdhsa_user_sgpr_kernarg_preload_length 0
  .amdhsa_user_sgpr_count 2
  .amdhsa_accum_offset 256 // accvgpr offset
  .amdhsa_next_free_vgpr 256 // vgprs
  .amdhsa_next_free_sgpr 50 // sgprs
  .amdhsa_group_segment_fixed_size 16384 // lds bytes
  .amdhsa_private_segment_fixed_size 0
  .amdhsa_system_sgpr_workgroup_id_x 1
  .amdhsa_system_sgpr_workgroup_id_y 1
  .amdhsa_system_sgpr_workgroup_id_z 1
  .amdhsa_system_vgpr_workitem_id 0
  .amdhsa_float_denorm_mode_32 3
  .amdhsa_float_denorm_mode_16_64 3
.end_amdhsa_kernel
.text

/******************************************/
/* Optimizations and Config:              */
/******************************************/
/* ThreadTile= 8 x 4 */
/* SubGroup= 16 x 16 */
/* VectorWidthA=1 */
/* VectorWidthB=1 */
/* GlobalLoadVectorWidthA=1, GlobalLoadVectorWidthB=1 */
/* DirectToLdsA=False */
/* DirectToLdsB=False */
/* UseSgprForGRO=False */
.amdgpu_metadata
---
amdhsa.version:
  - 1
  - 1
amdhsa.target: amdgcn-amd-amdhsa--gfx90a
amdhsa.kernels:
  - .name: Cijk_Ailk_BjlkC_ZB_MT128x64x8_MI16x16x4x1_SN_1LDSB0_APM1_ABV0_ACED0_AF0EM1_AF1EM1_AMAS0_ASE_ASGT_ASLT_ASEM1_AAC0_BL0_BS0_CLR0_DTVA1_DVO0_ETSP_EPS1_EMLL0_FL0_GLVWA1_GLVWB1_GRPM1_GRVW1_GSU1_GSUASB_GLS0_ISA90a_IU1_K1_KLA_LBSPPA0_LBSPPB0_LPA0_LPB0_LDL1_LRVW1_LWPMn1_LDW0_FMA_MIAV1_MO40_MMFGLC_NTA0_NTB0_NTC0_NTD0_NEPBS1_NLCA2_NLCB1_ONLL1_OPLV0_PK0_PAP0_PGR2_PLR3_SIA3_SS1_SU0_SUM0_SUS0_SCIUI1_SPO0_SRVW0_SSO0_SVW1_SNLL0_TSGRA0_TSGRB0_TT2_64_TLDS0_UMLDSA0_UMLDSB0_USFGROn1_VAW1_VSn1_VW1_VWB1_VFLRP0_WSGRA0_WSGRB0_WG64_4_1_WGM7
    .symbol: 'Cijk_Ailk_BjlkC_ZB_MT128x64x8_MI16x16x4x1_SN_1LDSB0_APM1_ABV0_ACED0_AF0EM1_AF1EM1_AMAS0_ASE_ASGT_ASLT_ASEM1_AAC0_BL0_BS0_CLR0_DTVA1_DVO0_ETSP_EPS1_EMLL0_FL0_GLVWA1_GLVWB1_GRPM1_GRVW1_GSU1_GSUASB_GLS0_ISA90a_IU1_K1_KLA_LBSPPA0_LBSPPB0_LPA0_LPB0_LDL1_LRVW1_LWPMn1_LDW0_FMA_MIAV1_MO40_MMFGLC_NTA0_NTB0_NTC0_NTD0_NEPBS1_NLCA2_NLCB1_ONLL1_OPLV0_PK0_PAP0_PGR2_PLR3_SIA3_SS1_SU0_SUM0_SUS0_SCIUI1_SPO0_SRVW0_SSO0_SVW1_SNLL0_TSGRA0_TSGRB0_TT2_64_TLDS0_UMLDSA0_UMLDSB0_USFGROn1_VAW1_VSn1_VW1_VWB1_VFLRP0_WSGRA0_WSGRB0_WG64_4_1_WGM7.kd'
    .language:                   OpenCL C
    .language_version:
      - 2
      - 0
    .args:
      - .name:            Tensor2dSizeA
        .size:            8
        .offset:          0
        .value_kind:      by_value
        .value_type:      u64
      - .name:            Tensor2dSizeB
        .size:            8
        .offset:          8
        .value_kind:      by_value
        .value_type:      u64
      - .name:            AddressD
        .size:            8
        .offset:          16
        .value_kind:      by_value
        .value_type:      u64
      - .name:            AddressC
        .size:            8
        .offset:          24
        .value_kind:      by_value
        .value_type:      u64
      - .name:            AddressA
        .size:            8
        .offset:          32
        .value_kind:      by_value
        .value_type:      u64
      - .name:            AddressB
        .size:            8
        .offset:          40
        .value_kind:      by_value
        .value_type:      u64
      - .name:            Alpha
        .size:            16
        .offset:          48
        .value_kind:      by_value
        .value_type:      u128
      - .name:            Beta
        .size:            16
        .offset:          64
        .value_kind:      by_value
        .value_type:      u128
      - .name:            StridesD
        .size:            8
        .offset:          80
        .value_kind:      by_value
        .value_type:      u64
      - .name:            StridesC
        .size:            8
        .offset:          88
        .value_kind:      by_value
        .value_type:      u64
      - .name:            StridesA
        .size:            8
        .offset:          96
        .value_kind:      by_value
        .value_type:      u64
      - .name:            StridesB
        .size:            8
        .offset:          104
        .value_kind:      by_value
        .value_type:      u64
      - .name:            SizesFree
        .size:            12
        .offset:          112
        .value_kind:      by_value
        .value_type:      u96
      - .name:            SizesSum
        .size:            4
        .offset:          124
        .value_kind:      by_value
        .value_type:      u32
      - .name:            NumWorkGroups0
        .size:            4
        .offset:          128
        .value_kind:      by_value
        .value_type:      u32
      - .name:            NumWorkGroups1
        .size:            4
        .offset:          132
        .value_kind:      by_value
        .value_type:      u32
      - .name:            NumFullBlocks
        .size:            4
        .offset:          136
        .value_kind:      by_value
        .value_type:      u32
      - .name:            WgmRemainder1
        .size:            4
        .offset:          140
        .value_kind:      by_value
        .value_type:      u32
      - .name:            MagicNumberWgmRemainder1
        .size:            4
        .offset:          144
        .value_kind:      by_value
        .value_type:      u32
    .group_segment_fixed_size:   16384
    .kernarg_segment_align:      8
    .kernarg_segment_size:       152
    .max_flat_workgroup_size:    256
    .private_segment_fixed_size: 0
    .sgpr_count:                 50
    .sgpr_spill_count:           0
    .vgpr_count:                 256
    .vgpr_spill_count:           0
    .wavefront_size:             64
...
.end_amdgpu_metadata
Cijk_Ailk_BjlkC_ZB_MT128x64x8_MI16x16x4x1_SN_1LDSB0_APM1_ABV0_ACED0_AF0EM1_AF1EM1_AMAS0_ASE_ASGT_ASLT_ASEM1_AAC0_BL0_BS0_CLR0_DTVA1_DVO0_ETSP_EPS1_EMLL0_FL0_GLVWA1_GLVWB1_GRPM1_GRVW1_GSU1_GSUASB_GLS0_ISA90a_IU1_K1_KLA_LBSPPA0_LBSPPB0_LPA0_LPB0_LDL1_LRVW1_LWPMn1_LDW0_FMA_MIAV1_MO40_MMFGLC_NTA0_NTB0_NTC0_NTD0_NEPBS1_NLCA2_NLCB1_ONLL1_OPLV0_PK0_PAP0_PGR2_PLR3_SIA3_SS1_SU0_SUM0_SUS0_SCIUI1_SPO0_SRVW0_SSO0_SVW1_SNLL0_TSGRA0_TSGRB0_TT2_64_TLDS0_UMLDSA0_UMLDSB0_USFGROn1_VAW1_VSn1_VW1_VWB1_VFLRP0_WSGRA0_WSGRB0_WG64_4_1_WGM7:

/******************************************/
/* Asm syntax workarounds                 */
/******************************************/
.macro _v_add_co_u32 dst:req, cc:req, src0:req, src1:req, dpp=
   v_add_co_u32 \dst, \cc, \src0, \src1 \dpp
.endm

.macro _v_add_u32 dst:req, src0:req, src1:req, dpp=
   v_add_u32 \dst, \src0, \src1 \dpp
.endm

.macro _v_add_i32 dst:req, src0:req, src1:req, dpp=
   v_add_i32 \dst, \src0, \src1 \dpp
.endm

.macro _v_addc_co_u32 dst:req, ccOut:req, src0:req, ccIn:req, src1:req, dpp=
   v_addc_co_u32 \dst, \ccOut, \src0, \ccIn, \src1 \dpp
.endm

.macro _v_sub_co_u32 dst:req, cc:req, src0:req, src1:req, dpp=
   v_sub_co_u32 \dst, \cc, \src0, \src1 \dpp
.endm

.macro _v_sub_u32 dst:req, src0:req, src1:req, dpp=
   v_sub_u32 \dst, \src0, \src1 \dpp
.endm

.macro _v_sub_i32 dst:req, src0:req, src1:req, dpp=
   v_sub_i32 \dst, \src0, \src1 \dpp
.endm

.macro _v_add_lshl_u32 dst:req, src0:req, src1:req, shiftCnt:req
    v_add_lshl_u32 \dst, \src0, \src1, \shiftCnt
.endm

.macro _v_lshl_add_u32 dst:req, src0:req, src1:req, shiftCnt:req
    v_lshl_add_u32 \dst, \src0, \src1, \shiftCnt
.endm

.macro _v_lshl_or_b32 dst:req, src0:req, shiftCnt:req, src1:req
    v_lshl_or_b32 \dst, \src0, \shiftCnt, \src1
.endm

.macro _v_dot2acc_f32_f16 dst, src0, src1
v_dot2c_f32_f16 \dst, \src0, \src1
.endm

.macro _v_cmpx_lt_i16 dst, src0, src1=
   v_cmpx_lt_i16 \dst, \src0, \src1 
.endm

.macro _v_cmpx_lt_i32 dst, src0, src1=
   v_cmpx_lt_i32 \dst, \src0, \src1 
.endm

.macro _v_cmpx_lt_i64 dst, src0, src1=
   v_cmpx_lt_i64 \dst, \src0, \src1 
.endm

.macro _v_cmpx_lt_u16 dst, src0, src1=
   v_cmpx_lt_u16 \dst, \src0, \src1 
.endm

.macro _v_cmpx_lt_u32 dst, src0, src1=
   v_cmpx_lt_u32 \dst, \src0, \src1 
.endm

.macro _v_cmpx_lt_u64 dst, src0, src1=
   v_cmpx_lt_u64 \dst, \src0, \src1 
.endm

.macro _v_cmpx_eq_i16 dst, src0, src1=
   v_cmpx_eq_i16 \dst, \src0, \src1 
.endm

.macro _v_cmpx_eq_i32 dst, src0, src1=
   v_cmpx_eq_i32 \dst, \src0, \src1 
.endm

.macro _v_cmpx_eq_i64 dst, src0, src1=
   v_cmpx_eq_i64 \dst, \src0, \src1 
.endm

.macro _v_cmpx_eq_u16 dst, src0, src1=
   v_cmpx_eq_u16 \dst, \src0, \src1 
.endm

.macro _v_cmpx_eq_u32 dst, src0, src1=
   v_cmpx_eq_u32 \dst, \src0, \src1 
.endm

.macro _v_cmpx_eq_u64 dst, src0, src1=
   v_cmpx_eq_u64 \dst, \src0, \src1 
.endm

.macro _v_cmpx_le_i16 dst, src0, src1=
   v_cmpx_le_i16 \dst, \src0, \src1 
.endm

.macro _v_cmpx_le_i32 dst, src0, src1=
   v_cmpx_le_i32 \dst, \src0, \src1 
.endm

.macro _v_cmpx_le_i64 dst, src0, src1=
   v_cmpx_le_i64 \dst, \src0, \src1 
.endm

.macro _v_cmpx_le_u16 dst, src0, src1=
   v_cmpx_le_u16 \dst, \src0, \src1 
.endm

.macro _v_cmpx_le_u32 dst, src0, src1=
   v_cmpx_le_u32 \dst, \src0, \src1 
.endm

.macro _v_cmpx_le_u64 dst, src0, src1=
   v_cmpx_le_u64 \dst, \src0, \src1 
.endm

.macro _v_cmpx_gt_i16 dst, src0, src1=
   v_cmpx_gt_i16 \dst, \src0, \src1 
.endm

.macro _v_cmpx_gt_i32 dst, src0, src1=
   v_cmpx_gt_i32 \dst, \src0, \src1 
.endm

.macro _v_cmpx_gt_i64 dst, src0, src1=
   v_cmpx_gt_i64 \dst, \src0, \src1 
.endm

.macro _v_cmpx_gt_u16 dst, src0, src1=
   v_cmpx_gt_u16 \dst, \src0, \src1 
.endm

.macro _v_cmpx_gt_u32 dst, src0, src1=
   v_cmpx_gt_u32 \dst, \src0, \src1 
.endm

.macro _v_cmpx_gt_u64 dst, src0, src1=
   v_cmpx_gt_u64 \dst, \src0, \src1 
.endm

.macro _v_cmpx_ne_i16 dst, src0, src1=
   v_cmpx_ne_i16 \dst, \src0, \src1 
.endm

.macro _v_cmpx_ne_i32 dst, src0, src1=
   v_cmpx_ne_i32 \dst, \src0, \src1 
.endm

.macro _v_cmpx_ne_i64 dst, src0, src1=
   v_cmpx_ne_i64 \dst, \src0, \src1 
.endm

.macro _v_cmpx_ne_u16 dst, src0, src1=
   v_cmpx_ne_u16 \dst, \src0, \src1 
.endm

.macro _v_cmpx_ne_u32 dst, src0, src1=
   v_cmpx_ne_u32 \dst, \src0, \src1 
.endm

.macro _v_cmpx_ne_u64 dst, src0, src1=
   v_cmpx_ne_u64 \dst, \src0, \src1 
.endm

.macro _v_cmpx_lg_i16 dst, src0, src1=
   v_cmpx_lg_i16 \dst, \src0, \src1 
.endm

.macro _v_cmpx_lg_i32 dst, src0, src1=
   v_cmpx_lg_i32 \dst, \src0, \src1 
.endm

.macro _v_cmpx_lg_i64 dst, src0, src1=
   v_cmpx_lg_i64 \dst, \src0, \src1 
.endm

.macro _v_cmpx_lg_u16 dst, src0, src1=
   v_cmpx_lg_u16 \dst, \src0, \src1 
.endm

.macro _v_cmpx_lg_u32 dst, src0, src1=
   v_cmpx_lg_u32 \dst, \src0, \src1 
.endm

.macro _v_cmpx_lg_u64 dst, src0, src1=
   v_cmpx_lg_u64 \dst, \src0, \src1 
.endm

.macro _v_cmpx_ge_i16 dst, src0, src1=
   v_cmpx_ge_i16 \dst, \src0, \src1 
.endm

.macro _v_cmpx_ge_i32 dst, src0, src1=
   v_cmpx_ge_i32 \dst, \src0, \src1 
.endm

.macro _v_cmpx_ge_i64 dst, src0, src1=
   v_cmpx_ge_i64 \dst, \src0, \src1 
.endm

.macro _v_cmpx_ge_u16 dst, src0, src1=
   v_cmpx_ge_u16 \dst, \src0, \src1 
.endm

.macro _v_cmpx_ge_u32 dst, src0, src1=
   v_cmpx_ge_u32 \dst, \src0, \src1 
.endm

.macro _v_cmpx_ge_u64 dst, src0, src1=
   v_cmpx_ge_u64 \dst, \src0, \src1 
.endm

.macro _v_cmpx_o_i16 dst, src0, src1=
   v_cmpx_o_i16 \dst, \src0, \src1 
.endm

.macro _v_cmpx_o_i32 dst, src0, src1=
   v_cmpx_o_i32 \dst, \src0, \src1 
.endm

.macro _v_cmpx_o_i64 dst, src0, src1=
   v_cmpx_o_i64 \dst, \src0, \src1 
.endm

.macro _v_cmpx_o_u16 dst, src0, src1=
   v_cmpx_o_u16 \dst, \src0, \src1 
.endm

.macro _v_cmpx_o_u32 dst, src0, src1=
   v_cmpx_o_u32 \dst, \src0, \src1 
.endm

.macro _v_cmpx_o_u64 dst, src0, src1=
   v_cmpx_o_u64 \dst, \src0, \src1 
.endm

.macro _v_cmpx_u_i16 dst, src0, src1=
   v_cmpx_u_i16 \dst, \src0, \src1 
.endm

.macro _v_cmpx_u_i32 dst, src0, src1=
   v_cmpx_u_i32 \dst, \src0, \src1 
.endm

.macro _v_cmpx_u_i64 dst, src0, src1=
   v_cmpx_u_i64 \dst, \src0, \src1 
.endm

.macro _v_cmpx_u_u16 dst, src0, src1=
   v_cmpx_u_u16 \dst, \src0, \src1 
.endm

.macro _v_cmpx_u_u32 dst, src0, src1=
   v_cmpx_u_u32 \dst, \src0, \src1 
.endm

.macro _v_cmpx_u_u64 dst, src0, src1=
   v_cmpx_u_u64 \dst, \src0, \src1 
.endm
.macro _v_mac_f32 c:req, a:req, b:req
    v_fmac_f32 \c, \a, \b
.endmacro

/* scale global load macros */
.macro _s_load_b32 dst base offset
    s_load_dword \dst \base \offset
.endm

.macro _s_load_b64 dst base offset
    s_load_dwordx2 \dst \base \offset
.endm

.macro _s_load_b128 dst base offset
    s_load_dwordx4 \dst \base \offset
.endm

.macro _s_load_b256 dst base offset
    s_load_dwordx8 \dst \base \offset
.endm

.macro _s_load_b512 dst base offset
    s_load_dwordx16 \dst \base \offset
.endm


/* ds operation macros */
.macro _ds_load_u8 dst src offset
    ds_read_u8 \dst \src \offset
.endm

.macro _ds_load_u8_d16_hi dst src offset
    ds_read_u8_d16_hi \dst \src \offset
.endm

.macro _ds_load_u16 dst src offset
    ds_read_u16 \dst \src \offset
.endm

.macro _ds_load_u16_d16_hi dst src offset
    ds_read_u16_d16_hi \dst \src \offset
.endm

.macro _ds_load_b32 dst src offset
    ds_read_b32 \dst \src \offset
.endm

.macro _ds_load_b64 dst src offset
    ds_read_b64 \dst \src \offset
.endm

.macro _ds_load_b128 dst src offset
    ds_read_b128 \dst \src \offset
.endm

.macro _ds_store_b8 dst src offset
    ds_write_b8 \dst \src \offset
.endm

.macro _ds_store_b8_d16_hi dst src offset
    ds_write_b8_d16_hi \dst \src \offset
.endm

.macro _ds_store_b16 dst src offset
    ds_write_b16 \dst \src \offset
.endm

.macro _ds_store_b16_d16_hi dst src offset
    ds_write_b16_d16_hi \dst \src \offset
.endm

.macro _ds_store_b32 dst src offset
    ds_write_b32 \dst \src \offset
.endm

.macro _ds_store_b64 dst src offset
    ds_write_b64 \dst \src \offset
.endm

.macro _ds_store_b128 dst src offset
    ds_write_b128 \dst \src \offset
.endm

.macro _ds_load2_b32 dst src offset1 offset2
    ds_read2_b32 \dst \src \offset1 \offset2
.endm

.macro _ds_load2_b64 dst src offset1 offset2
    ds_read2_b64 \dst \src \offset1 \offset2
.endm

.macro _ds_store2_b32 dst src offset1 offset2
    ds_write2_b32 \dst \src \offset1 \offset2
.endm

.macro _ds_store2_b64 dst src offset1 offset2
    ds_write2_b64 \dst \src \offset1 \offset2
.endm


/* buffer memory operation macros */
.macro _buffer_load_b32 dst voffset base soffset offen ioffset md0 md1 md2
    buffer_load_dword \dst \voffset \base \soffset \offen \ioffset \md0 \md1 \md2
.endm

.macro _buffer_load_b64 dst voffset base soffset offen ioffset md0 md1 md2
    buffer_load_dwordx2 \dst \voffset \base \soffset \offen \ioffset \md0 \md1 \md2
.endm

.macro _buffer_load_b96 dst voffset base soffset offen ioffset md0 md1 md2
    buffer_load_dwordx3 \dst \voffset \base \soffset \offen \ioffset \md0 \md1 \md2
.endm

.macro _buffer_load_b128 dst voffset base soffset offen ioffset md0 md1 md2
    buffer_load_dwordx4 \dst \voffset \base \soffset \offen \ioffset \md0 \md1 \md2
.endm

.macro _buffer_load_d16_b16 dst voffset base soffset offen ioffset md0 md1 md2
    buffer_load_short_d16 \dst \voffset \base \soffset \offen \ioffset \md0 \md1 \md2
.endm

.macro _buffer_load_d16_hi_b16 dst voffset base soffset offen ioffset md0 md1 md2
    buffer_load_short_d16_hi \dst \voffset \base \soffset \offen \ioffset \md0 \md1 \md2
.endm

.macro _buffer_load_d16_u8 dst voffset base soffset offen ioffset md0 md1 md2
    buffer_load_ubyte_d16 \dst \voffset \base \soffset \offen \ioffset \md0 \md1 \md2
.endm

.macro _buffer_load_d16_hi_u8 dst voffset base soffset offen ioffset md0 md1 md2
    buffer_load_ubyte_d16_hi \dst \voffset \base \soffset \offen \ioffset \md0 \md1 \md2
.endm

.macro _buffer_load_u16 dst voffset base soffset offen ioffset md0 md1 md2
    buffer_load_ushort \dst \voffset \base \soffset \offen \ioffset \md0 \md1 \md2
.endm

.macro _buffer_load_b32_dtl voffset base soffset offen ioffset md0 md1 md2
    buffer_load_dword \voffset \base \soffset \offen \ioffset \md0 \md1 \md2
.endm

.macro _buffer_load_b64_dtl voffset base soffset offen ioffset md0 md1 md2
    buffer_load_dwordx2 \voffset \base \soffset \offen \ioffset \md0 \md1 \md2
.endm

.macro _buffer_load_b128_dtl voffset base soffset offen ioffset md0 md1 md2
    buffer_load_dwordx4 \voffset \base \soffset \offen \ioffset \md0 \md1 \md2
.endm

.macro _buffer_load_u16_dtl voffset base soffset offen ioffset md0 md1 md2
    buffer_load_ushort \voffset \base \soffset \offen \ioffset \md0 \md1 \md2
.endm

.macro _buffer_store_b32 src voffset base soffset offen ioffset md0 md1 md2
    buffer_store_dword \src \voffset \base \soffset \offen \ioffset \md0 \md1 \md2
.endm

.macro _buffer_store_b64 src voffset base soffset offen ioffset md0 md1 md2
    buffer_store_dwordx2 \src \voffset \base \soffset \offen \ioffset \md0 \md1 \md2
.endm

.macro _buffer_store_b96 src voffset base soffset offen ioffset md0 md1 md2
    buffer_store_dwordx3 \src \voffset \base \soffset \offen \ioffset \md0 \md1 \md2
.endm

.macro _buffer_store_b128 src voffset base soffset offen ioffset md0 md1 md2
    buffer_store_dwordx4 \src \voffset \base \soffset \offen \ioffset \md0 \md1 \md2
.endm

.macro _buffer_store_b16 src voffset base soffset offen ioffset md0 md1 md2
    buffer_store_short \src \voffset \base \soffset \offen \ioffset \md0 \md1 \md2
.endm

.macro _buffer_store_d16_hi_b16 src voffset base soffset offen ioffset md0 md1 md2
    buffer_store_short_d16_hi \src \voffset \base \soffset \offen \ioffset \md0 \md1 \md2
.endm

.macro _buffer_store_b8 src voffset base soffset offen ioffset md0 md1 md2
    buffer_store_byte \src \voffset \base \soffset \offen \ioffset \md0 \md1 \md2
.endm

.macro _buffer_store_d16_hi_b8 src voffset base soffset offen ioffset md0 md1 md2
    buffer_store_byte_d16_hi \src \voffset \base \soffset \offen \ioffset \md0 \md1 \md2
.endm

.macro _buffer_atomic_cmpswap_b32 dst voffset base soffset offen ioffset md0 md1 md2
    buffer_atomic_cmpswap \dst \voffset \base \soffset \offen \ioffset \md0 \md1 \md2
.endm

.macro _buffer_atomic_cmpswap_b64 dst voffset base soffset offen ioffset md0 md1 md2
    buffer_atomic_cmpswap_x2 \dst \voffset \base \soffset \offen \ioffset \md0 \md1 \md2
.endm


/* buffer memory operation macros */
.macro _global_load_b32 dst base src ioffset md0 md1 md2
    global_load_dword \dst \base \src \ioffset \md0 \md1 \md2
.endm

.macro _global_load_b64 dst base src ioffset md0 md1 md2
    global_load_dwordx2 \dst \base \src \ioffset \md0 \md1 \md2
.endm

.macro _global_load_b96 dst base src ioffset md0 md1 md2
    global_load_dwordx3 \dst \base \src \ioffset \md0 \md1 \md2
.endm

.macro _global_load_b128 dst base src ioffset md0 md1 md2
    global_load_dwordx4 \dst \base \src \ioffset \md0 \md1 \md2
.endm

.macro _global_load_d16_b16 dst base src ioffset md0 md1 md2
    global_load_short_d16 \dst \base \src \ioffset \md0 \md1 \md2
.endm

.macro _global_load_d16_hi_b16 dst base src ioffset md0 md1 md2
    global_load_short_d16_hi \dst \base \src \ioffset \md0 \md1 \md2
.endm

.macro _global_load_d16_u8 dst base src ioffset md0 md1 md2
    global_load_ubyte_d16 \dst \base \src \ioffset \md0 \md1 \md2
.endm

.macro _global_load_d16_hi_u8 dst base src ioffset md0 md1 md2
    global_load_ubyte_d16_hi \dst \base \src \ioffset \md0 \md1 \md2
.endm

.macro _global_load_u16 dst base src ioffset md0 md1 md2
    global_load_ushort \dst \base \src \ioffset \md0 \md1 \md2
.endm

.macro _global_store_b32 base src src2 md0 md1 md2
    global_store_dword \base \src \src2 \md0 \md1 \md2
.endm

.macro _global_store_b64 base src src2 md0 md1 md2
    global_store_dwordx2 \base \src \src2 \md0 \md1 \md2
.endm

.macro _global_store_b96 base src src2 md0 md1 md2
    global_store_dwordx3 \base \src \src2 \md0 \md1 \md2
.endm

.macro _global_store_b128 base src src2 md0 md1 md2
    global_store_dwordx4 \base \src \src2 \md0 \md1 \md2
.endm

.macro _global_store_d16_b16 base src src2 md0 md1 md2
    global_store_short \base \src \src2 \md0 \md1 \md2
.endm

.macro _global_store_d16_hi_b16 base src src2 md0 md1 md2
    global_store_short_d16_hi \base \src \src2 \md0 \md1 \md2
.endm

.macro _global_store_d16_u8 base src src2 md0 md1 md2
    global_store_ubyte_d16 \base \src \src2 \md0 \md1 \md2
.endm

.macro _global_store_d16_hi_u8 base src src2 md0 md1 md2
    global_store_ubyte_d16_hi \base \src \src2 \md0 \md1 \md2
.endm

.macro _global_store_u16 base src src2 md0 md1 md2
    global_store_ushort \base \src \src2 \md0 \md1 \md2
.endm

.macro _global_atomic_cmpswap_b32 tmp base data src ioffset md
    global_atomic_cmpswap \tmp \base \data \src \ioffset \md
.endm

.macro _global_atomic_cmpswap_b64 tmp base data src ioffset md
    global_atomic_cmpswap_x2 \tmp \base \data \src \ioffset \md
.endm


/******************************************/
/* Magic div and mod functions            */
/******************************************/
.macro V_MAGIC_DIV dstIdx:req, dividend:req, magicNumber:req, magicShift:req, magicA:req
    v_mul_hi_u32 v[\dstIdx+1], \dividend, \magicNumber
    v_mul_lo_u32 v[\dstIdx+0], \dividend, \magicA
    _v_add_u32 v[\dstIdx+0], v[\dstIdx+0], v[\dstIdx+1]
    v_lshrrev_b32 v[\dstIdx+0], \magicShift, v[\dstIdx+0]
.endm

/******************************************/
/* VGPR Assignments                       */
/******************************************/
/* ValuC range: [0-128), serializedStore enabled */
.set vgprValuC, 0
/* ValuA/B   Xn=PLR buffer idx,  In=InnerUnroll idx */
.set vgprG2LA, 178
.set vgprG2LA0, 178
.set vgprG2LA1, 194
.set vgprValuB_X0_I0, 128
.set vgprValuB_X1_I0, 144
.set vgprG2LB, 210
.set vgprLocalWriteAddrB, 160
.set vgprGlobalReadAddrA, 162
.set vgprGlobalReadAddrB, 170
.set vgprGlobalReadIncsA, 174
.set vgprGlobalReadIncsB, 176
.set vgprLocalReadAddrB, 218
.set vgprSerial, 219
/* Num VGPR=256 */
/* Num AccVGPR=0 */

/******************************************/
/* SGPR Assignments                       */
/******************************************/
.set sgprKernArgAddress, 0 // (2)
.set sgprWorkGroup0, 2 // (1)
.set sgprWorkGroup1, 3 // (1)
.set sgprWorkGroup2, 4 // (1)
.set sgprLoopCounterL, 5 // (1)
.set sgprOrigLoopCounter, 6 // (1)
.set sgprTensor2dSizeA, 8 // (2)
.set sgprTensor2dSizeB, 10 // (2)
.set sgprAddressD, 12 // (2)
.set sgprAddressC, 14 // (2)
.set sgprAddressA, 16 // (2)
.set sgprAddressB, 18 // (2)
.set sgprAlpha, 20 // (4)
.set sgprBeta, 24 // (4)
.set sgprStridesD, 28 // (2)
.set sgprStridesC, 30 // (2)
.set sgprStridesA, 32 // (2)
.set sgprStridesB, 34 // (2)
.set sgprSizesFree, 36 // (3)
.set sgprSizesSum, 39 // (1)
.set sgprNumWorkGroups0, 40 // (1)
.set sgprNumWorkGroups1, 41 // (1)
.set sgprNumFullBlocks, 42 // (1)
.set sgprWgmRemainder1, 43 // (1)
.set sgprMagicNumberWgmRemainder1, 44 // (1)
/* max SGPR=50 */

/* Size Assignments */
.set sgprSizeI, sgprSizesFree+0
.set sgprSizeJ, sgprSizesFree+1
.set sgprSizeK, sgprSizesFree+2
.set sgprSizeL, sgprSizesSum+0

/* Stride Assignments */
.set constStrideD0I, 1
.set sgprStrideD1J, sgprStridesD+0
.set sgprStrideDK, sgprStridesD+1
.set constStrideC0I, 1
.set sgprStrideC1J, sgprStridesC+0
.set sgprStrideCK, sgprStridesC+1
.set constStrideA0I, 1
.set sgprStrideAL, sgprStridesA+0
.set sgprStrideAK, sgprStridesA+1
.set constStrideB1J, 1
.set sgprStrideBL, sgprStridesB+0
.set sgprStrideBK, sgprStridesB+1

.set MT0, 128
.set MT1, 64
.set DepthU, 8
.set GSU, 1
.set BpeA, 16
.set BpeALog2, 4
.set BpeB, 16
.set BpeBLog2, 4
/* Number of elements to shift-left SRD */
.set SrdShiftLeftA, 1
.set SrdShiftLeftB, 1

/* Global Offset D */
.macro GLOBAL_OFFSET_D vgprAddr:req vgprOffset0I:req vgprOffset1J:req sgprOffsetK:req vgprTmp:req
v_mul_lo_u32 v[\vgprTmp+0], s[sgprStrideD1J], v[\vgprOffset1J] // mul d1 lower
v_mul_hi_u32 v[\vgprTmp+1], s[sgprStrideD1J], v[\vgprOffset1J] // mul d1 upper
_v_add_co_u32 v[\vgprAddr+0], vcc, v[\vgprOffset0I], v[\vgprTmp+0] // accumulate K lower
_v_addc_co_u32 v[\vgprAddr+1], vcc, v[\vgprTmp+1], 0, vcc // accumulate K upper
v_mov_b32 v[\vgprTmp+2], s[\sgprOffsetK]           // sgprOffset -> vgprTmp+2
v_mul_lo_u32 v[\vgprTmp+0], s[sgprStrideDK], v[\vgprTmp+2] // other stride mul d2 lower
v_mul_hi_u32 v[\vgprTmp+1], s[sgprStrideDK], v[\vgprTmp+2] // mul d2 upper
_v_add_co_u32 v[\vgprAddr+0], vcc, v[\vgprAddr+0], v[\vgprTmp+0] // accumulate K lower
_v_addc_co_u32 v[\vgprAddr+1], vcc, v[\vgprTmp+1], v[\vgprAddr+1], vcc // accumulate K upper
v_lshlrev_b64 v[\vgprAddr+0:\vgprAddr+1], 0x4, v[\vgprAddr+0:\vgprAddr+1] // offset *= bytes/element
.endm

/* Global Offset C */
.macro GLOBAL_OFFSET_C vgprAddr:req vgprOffset0I:req vgprOffset1J:req sgprOffsetK:req vgprTmp:req
v_mul_lo_u32 v[\vgprTmp+0], s[sgprStrideC1J], v[\vgprOffset1J] // mul d1 lower
v_mul_hi_u32 v[\vgprTmp+1], s[sgprStrideC1J], v[\vgprOffset1J] // mul d1 upper
_v_add_co_u32 v[\vgprAddr+0], vcc, v[\vgprOffset0I], v[\vgprTmp+0] // accumulate K lower
_v_addc_co_u32 v[\vgprAddr+1], vcc, v[\vgprTmp+1], 0, vcc // accumulate K upper
v_mov_b32 v[\vgprTmp+2], s[\sgprOffsetK]           // sgprOffset -> vgprTmp+2
v_mul_lo_u32 v[\vgprTmp+0], s[sgprStrideCK], v[\vgprTmp+2] // other stride mul d2 lower
v_mul_hi_u32 v[\vgprTmp+1], s[sgprStrideCK], v[\vgprTmp+2] // mul d2 upper
_v_add_co_u32 v[\vgprAddr+0], vcc, v[\vgprAddr+0], v[\vgprTmp+0] // accumulate K lower
_v_addc_co_u32 v[\vgprAddr+1], vcc, v[\vgprTmp+1], v[\vgprAddr+1], vcc // accumulate K upper
v_lshlrev_b64 v[\vgprAddr+0:\vgprAddr+1], 0x4, v[\vgprAddr+0:\vgprAddr+1] // offset *= bytes/element
.endm

/* Global Offset A */
.macro GLOBAL_OFFSET_A vgprAddr:req vgprOffset0I:req vgprOffsetL:req sgprOffsetK:req vgprTmp:req
v_mul_lo_u32 v[\vgprTmp+0], s[sgprStrideAL], v[\vgprOffsetL] // mul d1 lower
v_mul_hi_u32 v[\vgprTmp+1], s[sgprStrideAL], v[\vgprOffsetL] // mul d1 upper
_v_add_co_u32 v[\vgprAddr+0], vcc, v[\vgprOffset0I], v[\vgprTmp+0] // accumulate K lower
_v_addc_co_u32 v[\vgprAddr+1], vcc, v[\vgprTmp+1], 0, vcc // accumulate K upper
v_mov_b32 v[\vgprTmp+2], s[\sgprOffsetK]           // sgprOffset -> vgprTmp+2
v_mul_lo_u32 v[\vgprTmp+0], s[sgprStrideAK], v[\vgprTmp+2] // other stride mul d2 lower
v_mul_hi_u32 v[\vgprTmp+1], s[sgprStrideAK], v[\vgprTmp+2] // mul d2 upper
_v_add_co_u32 v[\vgprAddr+0], vcc, v[\vgprAddr+0], v[\vgprTmp+0] // accumulate K lower
_v_addc_co_u32 v[\vgprAddr+1], vcc, v[\vgprTmp+1], v[\vgprAddr+1], vcc // accumulate K upper
v_lshlrev_b64 v[\vgprAddr+0:\vgprAddr+1], 0x4, v[\vgprAddr+0:\vgprAddr+1] // offset *= bytes/element
.endm

/* Global Offset B */
.macro GLOBAL_OFFSET_B vgprAddr:req vgprOffset1J:req vgprOffsetL:req sgprOffsetK:req vgprTmp:req
v_mul_lo_u32 v[\vgprTmp+0], s[sgprStrideBL], v[\vgprOffsetL] // mul d1 lower
v_mul_hi_u32 v[\vgprTmp+1], s[sgprStrideBL], v[\vgprOffsetL] // mul d1 upper
_v_add_co_u32 v[\vgprAddr+0], vcc, v[\vgprOffset1J], v[\vgprTmp+0] // accumulate K lower
_v_addc_co_u32 v[\vgprAddr+1], vcc, v[\vgprTmp+1], 0, vcc // accumulate K upper
v_mov_b32 v[\vgprTmp+2], s[\sgprOffsetK]           // sgprOffset -> vgprTmp+2
v_mul_lo_u32 v[\vgprTmp+0], s[sgprStrideBK], v[\vgprTmp+2] // other stride mul d2 lower
v_mul_hi_u32 v[\vgprTmp+1], s[sgprStrideBK], v[\vgprTmp+2] // mul d2 upper
_v_add_co_u32 v[\vgprAddr+0], vcc, v[\vgprAddr+0], v[\vgprTmp+0] // accumulate K lower
_v_addc_co_u32 v[\vgprAddr+1], vcc, v[\vgprTmp+1], v[\vgprAddr+1], vcc // accumulate K upper
v_lshlrev_b64 v[\vgprAddr+0:\vgprAddr+1], 0x4, v[\vgprAddr+0:\vgprAddr+1] // offset *= bytes/element
.endm

/******************************************/
/* Dynamic Scalar Divide: vQuotient=vDividend/vDivisor; vRemainder=vDividend%vDivisor; */
/******************************************/
.macro DYNAMIC_VECTOR_DIVIDE vQuotient vRemainder vDividend vDivisor vTmp0 vTmp1 sTmp
v_cvt_f32_u32 v[\vQuotient], v[\vDivisor]          // 
v_rcp_f32 v[\vQuotient], v[\vQuotient]             // 
v_mul_f32 v[\vQuotient], 0x4f800000, v[\vQuotient] // 
v_cvt_u32_f32 v[\vQuotient], v[\vQuotient]         // 
v_mul_lo_u32 v[\vRemainder], v[\vDivisor], v[\vQuotient] // 
v_mul_hi_u32 v[\vTmp0], v[\vDivisor], v[\vQuotient] // 
_v_sub_co_u32 v[\vTmp1], vcc, 0x0, v[\vRemainder]  // 
v_cmp_ne_i32 s[\sTmp:\sTmp+1], 0x0, v[\vTmp0]      // 
v_cndmask_b32 v[\vRemainder], v[\vTmp1], v[\vRemainder], s[\sTmp:\sTmp+1] // 
v_mul_hi_u32 v[\vRemainder], v[\vRemainder], v[\vQuotient] // 
_v_sub_co_u32 v[\vTmp0], vcc, v[\vQuotient], v[\vRemainder] // 
_v_add_co_u32 v[\vQuotient], vcc, v[\vQuotient], v[\vRemainder] // 
v_cndmask_b32 v[\vQuotient], v[\vQuotient], v[\vTmp0], s[\sTmp:\sTmp+1] // 
v_mul_hi_u32 v[\vQuotient], v[\vQuotient], v[\vDividend] // 
v_mul_lo_u32 v[\vRemainder], v[\vQuotient], v[\vDivisor] // 
_v_sub_co_u32 v[\vTmp0], vcc, v[\vDividend], v[\vRemainder] // 
v_cmp_ge_u32 s[\sTmp:\sTmp+1], v[\vDividend], v[\vRemainder] // 
_v_add_co_u32 v[\vRemainder], vcc, 0x1, v[\vQuotient] // 
_v_add_co_u32 v[\vTmp1], vcc, -1, v[\vQuotient]    // 
v_cmp_le_u32 vcc, v[\vDivisor], v[\vTmp0]          // 
s_and_b64 vcc, s[\sTmp:\sTmp+1], vcc               // 
v_cndmask_b32 v[\vQuotient], v[\vQuotient], v[\vRemainder], vcc // 
v_cndmask_b32 v[\vQuotient], v[\vTmp1], v[\vQuotient], s[\sTmp:\sTmp+1] // 
v_cmp_ne_i32 vcc, 0x0, v[\vDivisor]                // 
v_cndmask_b32 v[\vQuotient], -1, v[\vQuotient], vcc // final result
v_mul_lo_u32 v[\vRemainder], v[\vQuotient], v[\vDivisor] // 
_v_sub_co_u32 v[\vRemainder], vcc, v[\vDividend], v[\vRemainder] // final result
.endm


	;; [unrolled: 1-line block ×3, first 2 shown]
/******************************************/
/* Allocate Resources                     */
/******************************************/

Cijk_Ailk_BjlkC_ZB_MT128x64x8_MI16x16x4x1_SN_1LDSB0_APM1_ABV0_ACED0_AF0EM1_AF1EM1_AMAS0_ASE_ASGT_ASLT_ASEM1_AAC0_BL0_BS0_CLR0_DTVA1_DVO0_ETSP_EPS1_EMLL0_FL0_GLVWA1_GLVWB1_GRPM1_GRVW1_GSU1_GSUASB_GLS0_ISA90a_IU1_K1_KLA_LBSPPA0_LBSPPB0_LPA0_LPB0_LDL1_LRVW1_LWPMn1_LDW0_FMA_MIAV1_MO40_MMFGLC_NTA0_NTB0_NTC0_NTD0_NEPBS1_NLCA2_NLCB1_ONLL1_OPLV0_PK0_PAP0_PGR2_PLR3_SIA3_SS1_SU0_SUM0_SUS0_SCIUI1_SPO0_SRVW0_SSO0_SVW1_SNLL0_TSGRA0_TSGRB0_TT2_64_TLDS0_UMLDSA0_UMLDSB0_USFGROn1_VAW1_VSn1_VW1_VWB1_VFLRP0_WSGRA0_WSGRB0_WG64_4_1_WGM7_preloaded: // Kernel start when preloading

/* Load Kernel Args */
_s_load_b512 s[8:23], s[sgprKernArgAddress:sgprKernArgAddress+1], 0x0 // 
_s_load_b512 s[24:39], s[sgprKernArgAddress:sgprKernArgAddress+1], 0x40 // 
_s_load_b128 s[40:43], s[sgprKernArgAddress:sgprKernArgAddress+1], 0x80 // 
_s_load_b32 s44, s[sgprKernArgAddress:sgprKernArgAddress+1], 0x90 // 
s_mov_b32 m0, 0x4000                               // LDS clamp at 16384 bytes
v_mov_b32 v[vgprSerial], v0                        // thread serial id

/******************************************/
/* Local Read Addresses                   */
/******************************************/


/* local read addresses: tile assignments a/b */

/*lr1J*/
v_and_b32 v1, 63, v[vgprSerial]                    // 0. thread id in wave: wtid = tid % wavelength(64)
v_and_b32 v0, 15, v1                               // 1. N offset: nIdx = wtid % MI_N(16)
                                                   // 1. N offset: nOffset = nIdx * nStride(1) (multiplier is 1, do nothing)
                                                   // 2. block offset: bnIdx = bnIdx % num1DBlocks(1) is 0. do nothing
                                                   // 4. apply VectorWidth: bnOffset = bnOffset * vw(1) (multiplier is 1, do nothing)
v_lshrrev_b32 v1, 4, v1                            // 5. K offset: kIdx = wtid / (MIN(16) * MIBB(1))
v_lshlrev_b32 v1, 0x6, v1                          // 5. K offset: lrKOffset = kIdx * mStride(64)
_v_add_u32 v0, v1, v0                              // 6. offset in wave: lrOffset = bnOffset + lrKOffset


/* local read addresses: final offsets a */



/* local read addresses: final offsets b */

v_lshlrev_b32 v[vgprLocalReadAddrB], 0x4, v0       // Final Offset: offset = (lro1)*bpe


/* local read addresses: declare addresses a */

/* N/A */


/* local read addresses: declare addresses b */

s_waitcnt lgkmcnt(0)                               // wait for 148 bytes of kern args


/* Short circuit condition if Alpha == 0, then sumDims=0 */
v_cmp_eq_f64 vcc, s[sgprAlpha:sgprAlpha+1], 0.0    // Alpha.real == 0.0 ?
s_cbranch_vccz label_AlphaNonZero                  // branch if Alpha.real != 0
v_cmp_eq_f64 vcc, s[sgprAlpha+2:sgprAlpha+2+1], 0.0 // Alpha.imag == 0.0 ?
s_cbranch_vccz label_AlphaNonZero                  // branch if Alpha.imag != 0
s_mov_b32 s[sgprSizesSum+0], 0x0                   // Set summation dim=0 if Alpha == 0
label_AlphaNonZero:



/******************************************/
/* Begin setupNewTile, isPap=False           */
/******************************************/


/* global read addresses: work-group */

/* graWorkGroup mapping */
s_mov_b32 s49, 0x12492493L                         // magic number for WGM==7
s_mul_hi_u32 s47, s[sgprWorkGroup1], s49           // s_magic mul
s_mul_i32 s46, s[sgprWorkGroup1], s49              // s_magic mul
s_lshr_b64 s[46:47], s[46:47], 31                  // sMagicDiv
s_mul_i32 s47, s46, 7                              // quotient * non-magic divisor
s_sub_u32 s47, s[sgprWorkGroup1], s47              // WorkGroup1=remainder
s_mul_i32 s47, s47, s[sgprNumWorkGroups0]          // (wg1 % WGM)*nwg0
s_add_u32 s47, s47, s[sgprWorkGroup0]              // wgSerial = wg0 + (wg1 % WGM)*nwg1
s_cmp_ge_u32 s46, s[sgprNumFullBlocks]             // blockId >= numFullBlocks ?
s_cmov_b32 s49, s[sgprMagicNumberWgmRemainder1]    // 
s_cselect_b32 s48, s[sgprWgmRemainder1], 7         // 
s_mul_hi_u32 s3, s47, s49                          // s_magic mul
s_mul_i32 s2, s47, s49                             // s_magic mul
s_lshr_b64 s[2:3], s[2:3], 31                      // sMagicDiv
s_mul_i32 s[sgprWorkGroup1], s[sgprWorkGroup0], s48 // quotient * non-magic divisor
s_sub_u32 s[sgprWorkGroup1], s47, s[sgprWorkGroup1] // WorkGroup1=remainder
s_mul_i32 s46, s46, 7                              // blockId * WGM
s_add_u32 s[sgprWorkGroup1], s[sgprWorkGroup1], s46 // wg1 += blockId * WGM


/* global read addresses: tile offset assignment a */

/* LVCA = 64 */
/* v2 = groA-tile = serial%LVCA + (wgA*MTA) */
/* v1 = groA-unroll = serial/LVCA */
v_and_b32 v1, 63, v[vgprSerial]                    // 0. thread id in wave: wtid = tid % wavelength(64)
v_and_b32 v0, 15, v1                               // 1. N offset: nIdx = wtid % MI_N(16)
                                                   // 1. N offset: nOffset = nIdx * nStride(1) (multiplier is 1, do nothing)
                                                   // 2. block offset: bnIdx = bnIdx % num1DBlocks(1) is 0. do nothing
                                                   // 4. apply VectorWidth: bnOffset = bnOffset * vw(1) (multiplier is 1, do nothing)
v_lshrrev_b32 v1, 4, v1                            // 5. K offset: kIdx = wtid / (MIN(16) * MIBB(1))
v_lshrrev_b32 v4, 6, v[vgprSerial]                 // v4 = v[vgprSerial] / 64
v_and_b32 v3, 3, v4                                // v3 = v4 % 4
v_lshlrev_b32 v3, 0x4, v3                          // v3 = v3 * 16
_v_add_u32 v0, v3, v0                              // 
                                                   // v1 = v1 * 1 (multiplier is 1, do nothing)
/* gro-tile *= glvw */
                                                   // v0 = v0 * 1 (multiplier is 1, do nothing)
v_lshlrev_b32 v3, 0x7, s[sgprWorkGroup0]           // v3 = s[sgprWorkGroup0] * 128
_v_add_co_u32 v2, vcc, v3, v0                      // groA-tile = serial%LVCA*VW + (wgA*MTA)


/* global read addresses: tile offset assignment b */

/* LVCB = 64 */
/* v5 = groB-tile = serial%LVCB + (wgB*MTB) */
/* v4 = groB-unroll = serial/LVCB */
v_lshrrev_b32 v4, 6, v[vgprSerial]                 // v4 = v[vgprSerial] / 64
v_and_b32 v3, 63, v[vgprSerial]                    // v3 = v[vgprSerial] % 64
/* gro-tile *= glvw */
                                                   // v3 = v3 * 1 (multiplier is 1, do nothing)
v_lshlrev_b32 v6, 0x6, s[sgprWorkGroup1]           // v6 = s[sgprWorkGroup1] * 64
_v_add_co_u32 v5, vcc, v6, v3                      // groB-tile = serial%LVCB*VW + (wgB*MTB)


/* global read addresses: unroll assignment a */

/* v1 */


/* global read addresses: unroll assignment b */

/* v4 */


/* global read addresses: other free assignments */

/* s[sgprWorkGroup2] */


/* global read addresses: tile offsets a */

v_mov_b32 v6, v2                                   // groA0I_0
_v_add_co_u32 v7, vcc, 64, v6                      // groA0I_1 += LSCA


/* global read addresses: tile offsets b */

v_mov_b32 v2, v5                                   // groB1J_0


/* global read addresses: unroll offsets a */

v_mov_b32 v8, v1                                   // groAL_0
_v_add_co_u32 v9, vcc, 4, v8                       // groAL_1 + LSPA


/* global read addresses: unroll offsets b */

v_mov_b32 v10, v4                                  // groBL_0
_v_add_co_u32 v11, vcc, 4, v10                     // groBL_1 + LSPB


/* global read addresses: shift a */

s_sub_u32 s0, s[sgprSizeI], 1                      // edge = Size0I-1
v_mov_b32 v5, s0                                   // edge vgpr = Size0I-1
v_cmp_lt_u32 s[0:1], v6, v5                        // shiftedOffset < shiftedEdge
v_cndmask_b32 v6, v5, v6, s[0:1]                   // offset = (offset < edge) ? offset(v6) : edge(v5)
v_cmp_lt_u32 s[0:1], v7, v5                        // shiftedOffset < shiftedEdge
v_cndmask_b32 v7, v5, v7, s[0:1]                   // offset = (offset < edge) ? offset(v7) : edge(v5)


/* global read addresses: shift b */

s_sub_u32 s0, s[sgprSizeJ], 1                      // edge = Size1J-1
v_mov_b32 v5, s0                                   // edge vgpr = Size1J-1
v_cmp_lt_u32 s[0:1], v2, v5                        // shiftedOffset < shiftedEdge
v_cndmask_b32 v2, v5, v2, s[0:1]                   // offset = (offset < edge) ? offset(v2) : edge(v5)


/* global read addresses: final offsets a */

GLOBAL_OFFSET_A vgprGlobalReadAddrA+0,  6,  8, sgprWorkGroup2, 12 // gROA_0_0_0_0
GLOBAL_OFFSET_A vgprGlobalReadAddrA+2,  7,  8, sgprWorkGroup2, 12 // gROA_1_0_0_0
GLOBAL_OFFSET_A vgprGlobalReadAddrA+4,  6,  9, sgprWorkGroup2, 12 // gROA_0_0_1_0
GLOBAL_OFFSET_A vgprGlobalReadAddrA+6,  7,  9, sgprWorkGroup2, 12 // gROA_1_0_1_0


/* global read addresses: final offsets b */

GLOBAL_OFFSET_B vgprGlobalReadAddrB+0,  2, 10, sgprWorkGroup2, 5 // gROB_0_0_0_0
GLOBAL_OFFSET_B vgprGlobalReadAddrB+2,  2, 11, sgprWorkGroup2, 5 // gROB_0_0_1_0


/* global read addresses: addresses a */

v_mov_b32 v5, s[sgprAddressA+0]                    // 
v_mov_b32 v6, s[sgprAddressA+1]                    // 
_v_add_co_u32 v[vgprGlobalReadAddrA+0+0], vcc, v[vgprGlobalReadAddrA+0+0], v5 // gRAA_0_0_0_0 = addrA+grOA_0_0_0_0 (lower)
_v_addc_co_u32 v[vgprGlobalReadAddrA+0+1], vcc, v[vgprGlobalReadAddrA+0+1], v6, vcc // gRAA_0_0_0_0 = addrA+grOA_0_0_0_0 (upper)
_v_add_co_u32 v[vgprGlobalReadAddrA+2+0], vcc, v[vgprGlobalReadAddrA+2+0], v5 // gRAA_1_0_0_0 = addrA+grOA_1_0_0_0 (lower)
_v_addc_co_u32 v[vgprGlobalReadAddrA+2+1], vcc, v[vgprGlobalReadAddrA+2+1], v6, vcc // gRAA_1_0_0_0 = addrA+grOA_1_0_0_0 (upper)
_v_add_co_u32 v[vgprGlobalReadAddrA+4+0], vcc, v[vgprGlobalReadAddrA+4+0], v5 // gRAA_0_0_1_0 = addrA+grOA_0_0_1_0 (lower)
_v_addc_co_u32 v[vgprGlobalReadAddrA+4+1], vcc, v[vgprGlobalReadAddrA+4+1], v6, vcc // gRAA_0_0_1_0 = addrA+grOA_0_0_1_0 (upper)
_v_add_co_u32 v[vgprGlobalReadAddrA+6+0], vcc, v[vgprGlobalReadAddrA+6+0], v5 // gRAA_1_0_1_0 = addrA+grOA_1_0_1_0 (lower)
_v_addc_co_u32 v[vgprGlobalReadAddrA+6+1], vcc, v[vgprGlobalReadAddrA+6+1], v6, vcc // gRAA_1_0_1_0 = addrA+grOA_1_0_1_0 (upper)


/* global read addresses: addresses b */

v_mov_b32 v5, s[sgprAddressB+0]                    // 
v_mov_b32 v6, s[sgprAddressB+1]                    // 
_v_add_co_u32 v[vgprGlobalReadAddrB+0+0], vcc, v[vgprGlobalReadAddrB+0+0], v5 // gRAB_0_0_0_0 = addrB+grOB_0_0_0_0 (lower)
_v_addc_co_u32 v[vgprGlobalReadAddrB+0+1], vcc, v[vgprGlobalReadAddrB+0+1], v6, vcc // gRAB_0_0_0_0 = addrB+grOB_0_0_0_0 (upper)
_v_add_co_u32 v[vgprGlobalReadAddrB+2+0], vcc, v[vgprGlobalReadAddrB+2+0], v5 // gRAB_0_0_1_0 = addrB+grOB_0_0_1_0 (lower)
_v_addc_co_u32 v[vgprGlobalReadAddrB+2+1], vcc, v[vgprGlobalReadAddrB+2+1], v6, vcc // gRAB_0_0_1_0 = addrB+grOB_0_0_1_0 (upper)


/* global read addresses: increments a */

s_mul_i32 s0, DepthU*16, s[sgprStrideAL]           // incrAL = s[sgprStrideAL]*DepthU*bpe (unrollIdx)
s_mov_b32 s1, 0x0                                  // (carry)
v_mov_b32 v[vgprGlobalReadIncsA+0+0], s0           // 
v_mov_b32 v[vgprGlobalReadIncsA+0+1], s1           // 


/* global read addresses: increments b */

s_mul_i32 s0, DepthU*16, s[sgprStrideBL]           // incrBL = s[sgprStrideBL]*DepthU*bpe (unrollIdx)
s_mov_b32 s1, 0x0                                  // (carry)
v_mov_b32 v[vgprGlobalReadIncsB+0+0], s0           // 
v_mov_b32 v[vgprGlobalReadIncsB+0+1], s1           // 


/******************************************/
/* Local Write Addresses                  */
/******************************************/

/* lwaTileAssignmentA = v0 */

/* lwaTileAssignmentB = v3 */

/* lwaUnrollAssignmentA = v1 */

/* lwaUnrollAssignmentB = v4 */


/* local write addresses: first offset a */


	;; [unrolled: 1-line block ×3, first 2 shown]
/* local write addresses: first offset b */

v_mul_u32_u24 v[vgprLocalWriteAddrB], 0x40, v4     // lwBL**(MTB + PAD)
_v_add_lshl_u32 v[vgprLocalWriteAddrB], v3, v[vgprLocalWriteAddrB], 0x4 // lwFOB = (lwBB + lwBL*(MT1J+PAD))*bpe


	;; [unrolled: 1-line block ×7, first 2 shown]
/* declare loop num iterations */


s_lshr_b32 s[sgprLoopCounterL], s[sgprSizesSum+0], 3 // s[sgprLoopCounterL] = s[sgprSizesSum+0] / 8
s_mov_b32 s[sgprOrigLoopCounter], s[sgprLoopCounterL] // copy loop counter

/* local read addresses: init pointers a */


/* local read addresses: init pointers b */


/* localReadInitPointers */


/* prefetch: global -> local */

s_cmp_eq_u32 s[sgprLoopCounterL], 0                // at last iteration?
s_cbranch_scc1 ShadowInitStart_10                  // skip to ShadowInitStart iter b/c numIter==0


_global_load_b128 v[vgprG2LB+0:vgprG2LB+0+3], v[vgprGlobalReadAddrB+0:vgprGlobalReadAddrB+0+1], off, offset:0 // G -> Reg 0_0_0_0
_global_load_b128 v[vgprG2LB+4:vgprG2LB+4+3], v[vgprGlobalReadAddrB+2:vgprGlobalReadAddrB+2+1], off, offset:0 // G -> Reg 0_0_1_0


_global_load_b128 v[vgprG2LA0+0:vgprG2LA0+0+3], v[vgprGlobalReadAddrA+0:vgprGlobalReadAddrA+0+1], off, offset:0 // G -> Reg 0_0_0_0
_global_load_b128 v[vgprG2LA0+4:vgprG2LA0+4+3], v[vgprGlobalReadAddrA+2:vgprGlobalReadAddrA+2+1], off, offset:0 // G -> Reg 1_0_0_0
_global_load_b128 v[vgprG2LA0+8:vgprG2LA0+8+3], v[vgprGlobalReadAddrA+4:vgprGlobalReadAddrA+4+1], off, offset:0 // G -> Reg 0_0_1_0
_global_load_b128 v[vgprG2LA0+12:vgprG2LA0+12+3], v[vgprGlobalReadAddrA+6:vgprGlobalReadAddrA+6+1], off, offset:0 // G -> Reg 1_0_1_0


/* global read inc A loopL */
_v_add_co_u32  v[vgprGlobalReadAddrA+0+0], vcc, v[vgprGlobalReadAddrA+0+0], v[vgprGlobalReadIncsA+0+0] // gra += incAL (lower)
_v_addc_co_u32 v[vgprGlobalReadAddrA+0+1], vcc, v[vgprGlobalReadAddrA+0+1], v[vgprGlobalReadIncsA+0+1], vcc // gra += incAL (upper)
_v_add_co_u32  v[vgprGlobalReadAddrA+2+0], vcc, v[vgprGlobalReadAddrA+2+0], v[vgprGlobalReadIncsA+0+0] // gra += incAL (lower)
_v_addc_co_u32 v[vgprGlobalReadAddrA+2+1], vcc, v[vgprGlobalReadAddrA+2+1], v[vgprGlobalReadIncsA+0+1], vcc // gra += incAL (upper)
	;; [unrolled: 2-line block ×4, first 2 shown]

/* global read inc B loopL */
_v_add_co_u32  v[vgprGlobalReadAddrB+0+0], vcc, v[vgprGlobalReadAddrB+0+0], v[vgprGlobalReadIncsB+0+0] // gra += incBL (lower)
_v_addc_co_u32 v[vgprGlobalReadAddrB+0+1], vcc, v[vgprGlobalReadAddrB+0+1], v[vgprGlobalReadIncsB+0+1], vcc // gra += incBL (upper)
_v_add_co_u32  v[vgprGlobalReadAddrB+2+0], vcc, v[vgprGlobalReadAddrB+2+0], v[vgprGlobalReadIncsB+0+0] // gra += incBL (lower)
_v_addc_co_u32 v[vgprGlobalReadAddrB+2+1], vcc, v[vgprGlobalReadAddrB+2+1], v[vgprGlobalReadIncsB+0+1], vcc // gra += incBL (upper)


/******************************************/
/* End setupNewTile, isPap=False             */
/******************************************/

ShadowInitStart_10: // 


	;; [unrolled: 1-line block ×3, first 2 shown]
/* initC: remove C-tile 0-128 from pool */

/* initC: remove AB-tile 128-160 from pool */
v_mov_b32 v[vgprValuC+0], 0x0                      // initC
v_mov_b32 v[vgprValuC+1], 0x0                      // initC
	;; [unrolled: 1-line block ×10, first 2 shown]
v_mov_b32 v[vgprValuC+10], 0x0                     // initC
v_mov_b32 v[vgprValuC+11], 0x0                     // initC
	;; [unrolled: 1-line block ×90, first 2 shown]
v_mov_b32 v[vgprValuC+100], 0x0                    // initC
v_mov_b32 v[vgprValuC+101], 0x0                    // initC
	;; [unrolled: 1-line block ×28, first 2 shown]

s_cmp_eq_u32 s[sgprLoopCounterL], 0                // at last iteration?

/* after InitC, skip to end of prefetch last iter if numIter==0 */
s_cbranch_scc0 label_NoBranch_11                   // Only branch on scc1
s_getpc_B64 s[46:47]                               // addr of next instr
s_add_i32 s48, PrefetchGlobalLastIterEnd_5, 0x4    // target branch offset
s_add_u32 s46, s46, s48                            // add target branch offset
s_addc_u32 s47, s47, 0                             // add high and carry
s_setpc_b64 s[46:47]                               // branch to PrefetchGlobalLastIterEnd_5
label_NoBranch_11:

s_waitcnt vmcnt(4)                                 // lgkmcnt=-1 vmcnt=4 8wait for global read


/* local write a */

/* local write b */
_ds_store_b128 v[vgprLocalWriteAddrB], v[vgprG2LB+0:vgprG2LB+0+3] offset:0 // lwoB_0_0_0_0 = (0*LSCB) + (0*LSPB)(*MT1J+PAD) = 0
_ds_store_b128 v[vgprLocalWriteAddrB], v[vgprG2LB+4:vgprG2LB+4+3] offset:4096 // lwoB_0_0_1_0 = (0*LSCB) + (1*LSPB)(*MT1J+PAD) = 4096


/* local write swap a */


/* (EPS=1) local write swap internal offset -> 8192 */


/* local write swap b */


/* (EPS=1) local write swap internal offset -> 8192 */


	;; [unrolled: 1-line block ×3, first 2 shown]
s_cmp_eq_u32 s[sgprLoopCounterL] 0x1               // PGR=2 but only 1 loop
s_cbranch_scc1 label_0012                          // PGR=2 but only 1 loop


_global_load_b128 v[vgprG2LB+0:vgprG2LB+0+3], v[vgprGlobalReadAddrB+0:vgprGlobalReadAddrB+0+1], off, offset:0 // G -> Reg 0_0_0_0
_global_load_b128 v[vgprG2LB+4:vgprG2LB+4+3], v[vgprGlobalReadAddrB+2:vgprGlobalReadAddrB+2+1], off, offset:0 // G -> Reg 0_0_1_0


_global_load_b128 v[vgprG2LA1+0:vgprG2LA1+0+3], v[vgprGlobalReadAddrA+0:vgprGlobalReadAddrA+0+1], off, offset:0 // G -> Reg 0_0_0_0
_global_load_b128 v[vgprG2LA1+4:vgprG2LA1+4+3], v[vgprGlobalReadAddrA+2:vgprGlobalReadAddrA+2+1], off, offset:0 // G -> Reg 1_0_0_0
_global_load_b128 v[vgprG2LA1+8:vgprG2LA1+8+3], v[vgprGlobalReadAddrA+4:vgprGlobalReadAddrA+4+1], off, offset:0 // G -> Reg 0_0_1_0
_global_load_b128 v[vgprG2LA1+12:vgprG2LA1+12+3], v[vgprGlobalReadAddrA+6:vgprGlobalReadAddrA+6+1], off, offset:0 // G -> Reg 1_0_1_0

label_0012:                                        // 

s_waitcnt lgkmcnt(0)                               // lgkmcnt=0 vmcnt=-10prefetch wait for local write

// Skip force waitcnt0
s_barrier //


/* local read prefetch a */


	;; [unrolled: 1-line block ×3, first 2 shown]
/* local read prefetch b */

_ds_load_b128 v[vgprValuB_X0_I0+0:vgprValuB_X0_I0+0+3], v[vgprLocalReadAddrB] offset:0 // L -> Reg lro=0 swapByteOffset=0 ti=16 vIdx=0 rIdx=0 oIdx=0 buffer=0 iui=0
_ds_load_b128 v[vgprValuB_X0_I0+4:vgprValuB_X0_I0+4+3], v[vgprLocalReadAddrB] offset:256 // L -> Reg lro=0 swapByteOffset=0 ti=16 vIdx=1 rIdx=0 oIdx=0 buffer=0 iui=0
	;; [unrolled: 1-line block ×4, first 2 shown]


/* local read inc a */


	;; [unrolled: 1-line block ×3, first 2 shown]
/* local read inc b */

/* N/A, lro->256 */
/* self.localReadDoCntA 1 self.localReadDoCntB 1 */


	;; [unrolled: 1-line block ×3, first 2 shown]
/******************************************/
/* Unrolled Loop(s) - Begin               */
/******************************************/

openLoopL_13:
s_cmp_eq_u32 s[sgprLoopCounterL], 0x1              // LoopCounterL < EndCounter
s_cbranch_scc1 label_0014                          // PGR=2 but only 1 loop, toPGR1
s_cmp_le_u32 s[sgprLoopCounterL], 0x2              // LoopCounterL < EndCounter
s_cbranch_scc1 LoopEndL_evenexit_4                 // do not enter LoopL
LoopBeginL_1:


/******************************************/
/* Unrolled Loop 1/2 - Begin              */
/******************************************/

label_0015: // LoopCopy1 


/* Begin Each Unroll: Check VGPR.checkin for INT8 LW */


	;; [unrolled: 1-line block ×3, first 2 shown]
/* iter 0 (reset local read pointers iteration)  (swap and reset local write pointers iteration)  (swap local read pointers iteration)  */

s_waitcnt vmcnt(8)                                 // lgkmcnt=-1 vmcnt=8global read wait for DirectToVgpr

/*  grEndMfmaIndex:4, lwStartMfmaIndex:24, lwEndMfmaIndex:31  */
/*  numMfmaForLR:10, barrierMfmaIndex:53, LocalWritePerMfma:0.165 */
/*  mfmaIndex:0  */
s_waitcnt lgkmcnt(0)                               // lgkmcnt=0 vmcnt=-1wait for prior local read local write old=0, new=0 newLW=0 newLR=0
v_add_f64 v[220:221], -v[vgprG2LA+0+0:vgprG2LA+0+0+1], 0 // Ar=-Ar
v_mfma_f64_16x16x4f64 v[0+0:7+0], v[vgprValuB_X0_I0+0+0+0:vgprValuB_X0_I0+0+0+0+1], v[vgprG2LA+0+0:vgprG2LA+0+0+1], v[0:7]
 // Cr += Ar*Br
/*  mfmaIndex:1  */
_ds_load_b128 v[vgprValuB_X1_I0+0:vgprValuB_X1_I0+0+3], v[vgprLocalReadAddrB] offset:4096 // L -> Reg lro=256 swapByteOffset=0 ti=16 vIdx=0 rIdx=0 oIdx=0 buffer=1 iui=0

/* global read inc B loopL */
_v_add_co_u32  v[vgprGlobalReadAddrB+0+0], vcc, v[vgprGlobalReadAddrB+0+0], v[vgprGlobalReadIncsB+0+0] // gra += incBL (lower)
_v_addc_co_u32 v[vgprGlobalReadAddrB+0+1], vcc, v[vgprGlobalReadAddrB+0+1], v[vgprGlobalReadIncsB+0+1], vcc // gra += incBL (upper)
_v_add_co_u32  v[vgprGlobalReadAddrB+2+0], vcc, v[vgprGlobalReadAddrB+2+0], v[vgprGlobalReadIncsB+0+0] // gra += incBL (lower)
v_mfma_f64_16x16x4f64 v[64+0:71+0], v[vgprValuB_X0_I0+0+0+0:vgprValuB_X0_I0+0+0+0+1], v[vgprG2LA+0+0+2:vgprG2LA+0+0+2+1], v[64:71]
 // Ci += Ai*Br
/*  mfmaIndex:2  */
_ds_load_b128 v[vgprValuB_X1_I0+4:vgprValuB_X1_I0+4+3], v[vgprLocalReadAddrB] offset:4352 // L -> Reg lro=256 swapByteOffset=0 ti=16 vIdx=1 rIdx=0 oIdx=0 buffer=1 iui=0
_v_addc_co_u32 v[vgprGlobalReadAddrB+2+1], vcc, v[vgprGlobalReadAddrB+2+1], v[vgprGlobalReadIncsB+0+1], vcc // gra += incBL (upper)

/* global read inc A loopL */
_v_add_co_u32  v[vgprGlobalReadAddrA+0+0], vcc, v[vgprGlobalReadAddrA+0+0], v[vgprGlobalReadIncsA+0+0] // gra += incAL (lower)
_v_addc_co_u32 v[vgprGlobalReadAddrA+0+1], vcc, v[vgprGlobalReadAddrA+0+1], v[vgprGlobalReadIncsA+0+1], vcc // gra += incAL (upper)
v_mfma_f64_16x16x4f64 v[0+0:7+0], v[vgprValuB_X0_I0+0+0+0+2:vgprValuB_X0_I0+0+0+0+2+1], v[vgprG2LA+0+0+2:vgprG2LA+0+0+2+1], v[0:7]
 // Cr += Ai*Bi
/*  mfmaIndex:3  */
_ds_load_b128 v[vgprValuB_X1_I0+8:vgprValuB_X1_I0+8+3], v[vgprLocalReadAddrB] offset:4608 // L -> Reg lro=256 swapByteOffset=0 ti=16 vIdx=2 rIdx=0 oIdx=0 buffer=1 iui=0
_v_add_co_u32  v[vgprGlobalReadAddrA+2+0], vcc, v[vgprGlobalReadAddrA+2+0], v[vgprGlobalReadIncsA+0+0] // gra += incAL (lower)
_v_addc_co_u32 v[vgprGlobalReadAddrA+2+1], vcc, v[vgprGlobalReadAddrA+2+1], v[vgprGlobalReadIncsA+0+1], vcc // gra += incAL (upper)
_v_add_co_u32  v[vgprGlobalReadAddrA+4+0], vcc, v[vgprGlobalReadAddrA+4+0], v[vgprGlobalReadIncsA+0+0] // gra += incAL (lower)
v_mfma_f64_16x16x4f64 v[64+0:71+0], v[vgprValuB_X0_I0+0+0+0+2:vgprValuB_X0_I0+0+0+0+2+1], v[220:221], v[64:71]
 // Ci += -Ar*Bi
/*  mfmaIndex:4  */
_ds_load_b128 v[vgprValuB_X1_I0+12:vgprValuB_X1_I0+12+3], v[vgprLocalReadAddrB] offset:4864 // L -> Reg lro=256 swapByteOffset=0 ti=16 vIdx=3 rIdx=0 oIdx=0 buffer=1 iui=0
/* localReadsVacancy: latencyLeft 1 */
_v_addc_co_u32 v[vgprGlobalReadAddrA+4+1], vcc, v[vgprGlobalReadAddrA+4+1], v[vgprGlobalReadIncsA+0+1], vcc // gra += incAL (upper)
_v_add_co_u32  v[vgprGlobalReadAddrA+6+0], vcc, v[vgprGlobalReadAddrA+6+0], v[vgprGlobalReadIncsA+0+0] // gra += incAL (lower)
_v_addc_co_u32 v[vgprGlobalReadAddrA+6+1], vcc, v[vgprGlobalReadAddrA+6+1], v[vgprGlobalReadIncsA+0+1], vcc // gra += incAL (upper)
v_mfma_f64_16x16x4f64 v[16+0:23+0], v[vgprValuB_X0_I0+4+0+0:vgprValuB_X0_I0+4+0+0+1], v[vgprG2LA+0+0:vgprG2LA+0+0+1], v[16:23]
 // Cr += Ar*Br
/*  mfmaIndex:5  */
/* localReadsVacancy: latencyLeft 5 */
v_mfma_f64_16x16x4f64 v[80+0:87+0], v[vgprValuB_X0_I0+4+0+0:vgprValuB_X0_I0+4+0+0+1], v[vgprG2LA+0+0+2:vgprG2LA+0+0+2+1], v[80:87]
 // Ci += Ai*Br
/*  mfmaIndex:6  */
/* localReadsVacancy: latencyLeft 5 */
v_mfma_f64_16x16x4f64 v[16+0:23+0], v[vgprValuB_X0_I0+4+0+0+2:vgprValuB_X0_I0+4+0+0+2+1], v[vgprG2LA+0+0+2:vgprG2LA+0+0+2+1], v[16:23]
 // Cr += Ai*Bi
/*  mfmaIndex:7  */
/* localReadsVacancy: latencyLeft 5 */
v_mfma_f64_16x16x4f64 v[80+0:87+0], v[vgprValuB_X0_I0+4+0+0+2:vgprValuB_X0_I0+4+0+0+2+1], v[220:221], v[80:87]
 // Ci += -Ar*Bi
/*  mfmaIndex:8  */
/* localReadsVacancy: latencyLeft 5 */
v_mfma_f64_16x16x4f64 v[32+0:39+0], v[vgprValuB_X0_I0+8+0+0:vgprValuB_X0_I0+8+0+0+1], v[vgprG2LA+0+0:vgprG2LA+0+0+1], v[32:39]
 // Cr += Ar*Br
/*  mfmaIndex:9  */
/* localReadsVacancy: latencyLeft 5 */
v_mfma_f64_16x16x4f64 v[96+0:103+0], v[vgprValuB_X0_I0+8+0+0:vgprValuB_X0_I0+8+0+0+1], v[vgprG2LA+0+0+2:vgprG2LA+0+0+2+1], v[96:103]
 // Ci += Ai*Br
/*  mfmaIndex:10  */
/* localReadsVacancy: latencyLeft 5 */
v_mfma_f64_16x16x4f64 v[32+0:39+0], v[vgprValuB_X0_I0+8+0+0+2:vgprValuB_X0_I0+8+0+0+2+1], v[vgprG2LA+0+0+2:vgprG2LA+0+0+2+1], v[32:39]
 // Cr += Ai*Bi
/*  mfmaIndex:11  */
/* localReadsVacancy: latencyLeft 5 */
v_mfma_f64_16x16x4f64 v[96+0:103+0], v[vgprValuB_X0_I0+8+0+0+2:vgprValuB_X0_I0+8+0+0+2+1], v[220:221], v[96:103]
 // Ci += -Ar*Bi
/*  mfmaIndex:12  */
/* localReadsVacancy: latencyLeft 5 */
	;; [unrolled: 16-line block ×3, first 2 shown]
v_add_f64 v[220:221], -v[vgprG2LA+4+0:vgprG2LA+4+0+1], 0 // Ar=-Ar
v_mfma_f64_16x16x4f64 v[8+0:15+0], v[vgprValuB_X0_I0+0+0+0:vgprValuB_X0_I0+0+0+0+1], v[vgprG2LA+4+0:vgprG2LA+4+0+1], v[8:15]
 // Cr += Ar*Br
/*  mfmaIndex:17  */
/* localReadsVacancy: latencyLeft 5 */
v_mfma_f64_16x16x4f64 v[72+0:79+0], v[vgprValuB_X0_I0+0+0+0:vgprValuB_X0_I0+0+0+0+1], v[vgprG2LA+4+0+2:vgprG2LA+4+0+2+1], v[72:79]
 // Ci += Ai*Br
/*  mfmaIndex:18  */
/* localReadsVacancy: latencyLeft 5 */
v_mfma_f64_16x16x4f64 v[8+0:15+0], v[vgprValuB_X0_I0+0+0+0+2:vgprValuB_X0_I0+0+0+0+2+1], v[vgprG2LA+4+0+2:vgprG2LA+4+0+2+1], v[8:15]
 // Cr += Ai*Bi
/*  mfmaIndex:19  */
/* localReadsVacancy: latencyLeft 5 */
v_mfma_f64_16x16x4f64 v[72+0:79+0], v[vgprValuB_X0_I0+0+0+0+2:vgprValuB_X0_I0+0+0+0+2+1], v[220:221], v[72:79]
 // Ci += -Ar*Bi
/*  mfmaIndex:20  */
/* localReadsVacancy: latencyLeft 5 */
v_mfma_f64_16x16x4f64 v[24+0:31+0], v[vgprValuB_X0_I0+4+0+0:vgprValuB_X0_I0+4+0+0+1], v[vgprG2LA+4+0:vgprG2LA+4+0+1], v[24:31]
 // Cr += Ar*Br
/*  mfmaIndex:21  */
/* localReadsVacancy: latencyLeft 5 */
v_mfma_f64_16x16x4f64 v[88+0:95+0], v[vgprValuB_X0_I0+4+0+0:vgprValuB_X0_I0+4+0+0+1], v[vgprG2LA+4+0+2:vgprG2LA+4+0+2+1], v[88:95]
 // Ci += Ai*Br
/*  mfmaIndex:22  */
/* localReadsVacancy: latencyLeft 5 */
v_mfma_f64_16x16x4f64 v[24+0:31+0], v[vgprValuB_X0_I0+4+0+0+2:vgprValuB_X0_I0+4+0+0+2+1], v[vgprG2LA+4+0+2:vgprG2LA+4+0+2+1], v[24:31]
 // Cr += Ai*Bi
/*  mfmaIndex:23  */
/* localReadsVacancy: latencyLeft 5 */
v_mfma_f64_16x16x4f64 v[88+0:95+0], v[vgprValuB_X0_I0+4+0+0+2:vgprValuB_X0_I0+4+0+0+2+1], v[220:221], v[88:95]
 // Ci += -Ar*Bi
/*  mfmaIndex:24  */
/* sched write - iter 0 writesPerItem=1 */
s_waitcnt vmcnt(0)                                 // lgkmcnt=-1 vmcnt=0wait for global read before writing to local
_ds_store_b128 v[vgprLocalWriteAddrB], v[vgprG2LB+0:vgprG2LB+0+3] offset:8192 // lwoB_0_0_0_0 = (0*LSCB) + (0*LSPB)(*MT1J+PAD) = 8192
v_mfma_f64_16x16x4f64 v[40+0:47+0], v[vgprValuB_X0_I0+8+0+0:vgprValuB_X0_I0+8+0+0+1], v[vgprG2LA+4+0:vgprG2LA+4+0+1], v[40:47]
 // Cr += Ar*Br
/*  mfmaIndex:25  */
/* localReadsVacancy: latencyLeft 5 */
_global_load_b128 v[vgprG2LB+0:vgprG2LB+0+3], v[vgprGlobalReadAddrB+0:vgprGlobalReadAddrB+0+1], off, offset:0 // G -> Reg 0_0_0_0
v_mfma_f64_16x16x4f64 v[104+0:111+0], v[vgprValuB_X0_I0+8+0+0:vgprValuB_X0_I0+8+0+0+1], v[vgprG2LA+4+0+2:vgprG2LA+4+0+2+1], v[104:111]
 // Ci += Ai*Br
/*  mfmaIndex:26  */
/* localReadsVacancy: latencyLeft 5 */
v_mfma_f64_16x16x4f64 v[40+0:47+0], v[vgprValuB_X0_I0+8+0+0+2:vgprValuB_X0_I0+8+0+0+2+1], v[vgprG2LA+4+0+2:vgprG2LA+4+0+2+1], v[40:47]
 // Cr += Ai*Bi
/*  mfmaIndex:27  */
/* localReadsVacancy: latencyLeft 5 */
v_mfma_f64_16x16x4f64 v[104+0:111+0], v[vgprValuB_X0_I0+8+0+0+2:vgprValuB_X0_I0+8+0+0+2+1], v[220:221], v[104:111]
 // Ci += -Ar*Bi
/*  mfmaIndex:28  */
/* localReadsVacancy: latencyLeft 5 */
v_mfma_f64_16x16x4f64 v[56+0:63+0], v[vgprValuB_X0_I0+12+0+0:vgprValuB_X0_I0+12+0+0+1], v[vgprG2LA+4+0:vgprG2LA+4+0+1], v[56:63]
 // Cr += Ar*Br
/*  mfmaIndex:29  */
/* localReadsVacancy: latencyLeft 5 */
v_mfma_f64_16x16x4f64 v[120+0:127+0], v[vgprValuB_X0_I0+12+0+0:vgprValuB_X0_I0+12+0+0+1], v[vgprG2LA+4+0+2:vgprG2LA+4+0+2+1], v[120:127]
 // Ci += Ai*Br
/*  mfmaIndex:30  */
/* sched write - iter 0 writesPerItem=1 */
s_waitcnt vmcnt(0)                                 // lgkmcnt=-1 vmcnt=0wait for global read before writing to local
_ds_store_b128 v[vgprLocalWriteAddrB], v[vgprG2LB+4:vgprG2LB+4+3] offset:12288 // lwoB_0_0_1_0 = (0*LSCB) + (1*LSPB)(*MT1J+PAD) = 12288
v_mfma_f64_16x16x4f64 v[56+0:63+0], v[vgprValuB_X0_I0+12+0+0+2:vgprValuB_X0_I0+12+0+0+2+1], v[vgprG2LA+4+0+2:vgprG2LA+4+0+2+1], v[56:63]
 // Cr += Ai*Bi
/*  mfmaIndex:31  */
/* localReadsVacancy: latencyLeft 5 */
_global_load_b128 v[vgprG2LB+4:vgprG2LB+4+3], v[vgprGlobalReadAddrB+2:vgprGlobalReadAddrB+2+1], off, offset:0 // G -> Reg 0_0_1_0

/* local write swap offsets a */

/* (EPS=1) local write swap internal offset -> 0 */

/* local write swap offsets b */

/* (EPS=1) local write swap internal offset -> 0 */

/* local read swap offsets a */

/* local read swap offsets b */

/* local read swap internal offset -> 8192 */

/* local read init pointers a */

/* local read init pointers b */

/* localReadInitPointers */
v_mfma_f64_16x16x4f64 v[120+0:127+0], v[vgprValuB_X0_I0+12+0+0+2:vgprValuB_X0_I0+12+0+0+2+1], v[220:221], v[120:127]
 // Ci += -Ar*Bi
/* numPrefetchIter=0 */
/* dataAtIterA=-1 numReadsIterA=1 skipReadsIterA=1 readsPerIterA=2 */
/* dataAtIterB=-1 numReadsIterB=1 skipReadsIterB=1 readsPerIterB=4 */


/* iter 1 */

/*  grEndMfmaIndex:4, lwStartMfmaIndex:24, lwEndMfmaIndex:31  */
/*  numMfmaForLR:10, barrierMfmaIndex:53, LocalWritePerMfma:0.165 */
/*  mfmaIndex:32  */
s_waitcnt lgkmcnt(2)                               // lgkmcnt=0 vmcnt=-1wait for prior local read local write old=0, new=2 newLW=2 newLR=0
v_add_f64 v[220:221], -v[vgprG2LA+8+0:vgprG2LA+8+0+1], 0 // Ar=-Ar
v_mfma_f64_16x16x4f64 v[0+0:7+0], v[vgprValuB_X1_I0+0+0+0:vgprValuB_X1_I0+0+0+0+1], v[vgprG2LA+8+0:vgprG2LA+8+0+1], v[0:7]
 // Cr += Ar*Br
/*  mfmaIndex:33  */
v_mfma_f64_16x16x4f64 v[64+0:71+0], v[vgprValuB_X1_I0+0+0+0:vgprValuB_X1_I0+0+0+0+1], v[vgprG2LA+8+0+2:vgprG2LA+8+0+2+1], v[64:71]
 // Ci += Ai*Br
/*  mfmaIndex:34  */
v_mfma_f64_16x16x4f64 v[0+0:7+0], v[vgprValuB_X1_I0+0+0+0+2:vgprValuB_X1_I0+0+0+0+2+1], v[vgprG2LA+8+0+2:vgprG2LA+8+0+2+1], v[0:7]
 // Cr += Ai*Bi
/*  mfmaIndex:35  */
v_mfma_f64_16x16x4f64 v[64+0:71+0], v[vgprValuB_X1_I0+0+0+0+2:vgprValuB_X1_I0+0+0+0+2+1], v[220:221], v[64:71]
 // Ci += -Ar*Bi
/*  mfmaIndex:36  */
v_mfma_f64_16x16x4f64 v[16+0:23+0], v[vgprValuB_X1_I0+4+0+0:vgprValuB_X1_I0+4+0+0+1], v[vgprG2LA+8+0:vgprG2LA+8+0+1], v[16:23]
 // Cr += Ar*Br
/*  mfmaIndex:37  */
v_mfma_f64_16x16x4f64 v[80+0:87+0], v[vgprValuB_X1_I0+4+0+0:vgprValuB_X1_I0+4+0+0+1], v[vgprG2LA+8+0+2:vgprG2LA+8+0+2+1], v[80:87]
 // Ci += Ai*Br
/*  mfmaIndex:38  */
v_mfma_f64_16x16x4f64 v[16+0:23+0], v[vgprValuB_X1_I0+4+0+0+2:vgprValuB_X1_I0+4+0+0+2+1], v[vgprG2LA+8+0+2:vgprG2LA+8+0+2+1], v[16:23]
 // Cr += Ai*Bi
/*  mfmaIndex:39  */
v_mfma_f64_16x16x4f64 v[80+0:87+0], v[vgprValuB_X1_I0+4+0+0+2:vgprValuB_X1_I0+4+0+0+2+1], v[220:221], v[80:87]
 // Ci += -Ar*Bi
/*  mfmaIndex:40  */
	;; [unrolled: 12-line block ×4, first 2 shown]
v_add_f64 v[220:221], -v[vgprG2LA+12+0:vgprG2LA+12+0+1], 0 // Ar=-Ar
v_mfma_f64_16x16x4f64 v[8+0:15+0], v[vgprValuB_X1_I0+0+0+0:vgprValuB_X1_I0+0+0+0+1], v[vgprG2LA+12+0:vgprG2LA+12+0+1], v[8:15]
 // Cr += Ar*Br
/*  mfmaIndex:49  */
v_mfma_f64_16x16x4f64 v[72+0:79+0], v[vgprValuB_X1_I0+0+0+0:vgprValuB_X1_I0+0+0+0+1], v[vgprG2LA+12+0+2:vgprG2LA+12+0+2+1], v[72:79]
 // Ci += Ai*Br
/*  mfmaIndex:50  */
v_mfma_f64_16x16x4f64 v[8+0:15+0], v[vgprValuB_X1_I0+0+0+0+2:vgprValuB_X1_I0+0+0+0+2+1], v[vgprG2LA+12+0+2:vgprG2LA+12+0+2+1], v[8:15]
 // Cr += Ai*Bi
/*  mfmaIndex:51  */
v_mfma_f64_16x16x4f64 v[72+0:79+0], v[vgprValuB_X1_I0+0+0+0+2:vgprValuB_X1_I0+0+0+0+2+1], v[220:221], v[72:79]
 // Ci += -Ar*Bi
_global_load_b128 v[vgprG2LA0+0:vgprG2LA0+0+3], v[vgprGlobalReadAddrA+0:vgprGlobalReadAddrA+0+1], off, offset:0 // G -> Reg 0_0_0_0
/*  mfmaIndex:52  */
v_mfma_f64_16x16x4f64 v[24+0:31+0], v[vgprValuB_X1_I0+4+0+0:vgprValuB_X1_I0+4+0+0+1], v[vgprG2LA+12+0:vgprG2LA+12+0+1], v[24:31]
 // Cr += Ar*Br
/*  mfmaIndex:53  */
s_waitcnt lgkmcnt(0)                               // lgkmcnt=0 vmcnt=-13wait for local write
s_barrier
v_mfma_f64_16x16x4f64 v[88+0:95+0], v[vgprValuB_X1_I0+4+0+0:vgprValuB_X1_I0+4+0+0+1], v[vgprG2LA+12+0+2:vgprG2LA+12+0+2+1], v[88:95]
 // Ci += Ai*Br
/*  mfmaIndex:54  */
_ds_load_b128 v[vgprValuB_X0_I0+0:vgprValuB_X0_I0+0+3], v[vgprLocalReadAddrB] offset:8192 // L -> Reg lro=0 swapByteOffset=8192 ti=16 vIdx=0 rIdx=0 oIdx=0 buffer=0 iui=0
v_mfma_f64_16x16x4f64 v[24+0:31+0], v[vgprValuB_X1_I0+4+0+0+2:vgprValuB_X1_I0+4+0+0+2+1], v[vgprG2LA+12+0+2:vgprG2LA+12+0+2+1], v[24:31]
 // Cr += Ai*Bi
/*  mfmaIndex:55  */
_ds_load_b128 v[vgprValuB_X0_I0+4:vgprValuB_X0_I0+4+3], v[vgprLocalReadAddrB] offset:8448 // L -> Reg lro=0 swapByteOffset=8192 ti=16 vIdx=1 rIdx=0 oIdx=0 buffer=0 iui=0
v_mfma_f64_16x16x4f64 v[88+0:95+0], v[vgprValuB_X1_I0+4+0+0+2:vgprValuB_X1_I0+4+0+0+2+1], v[220:221], v[88:95]
 // Ci += -Ar*Bi
_global_load_b128 v[vgprG2LA0+4:vgprG2LA0+4+3], v[vgprGlobalReadAddrA+2:vgprGlobalReadAddrA+2+1], off, offset:0 // G -> Reg 1_0_0_0
/*  mfmaIndex:56  */
_ds_load_b128 v[vgprValuB_X0_I0+8:vgprValuB_X0_I0+8+3], v[vgprLocalReadAddrB] offset:8704 // L -> Reg lro=0 swapByteOffset=8192 ti=16 vIdx=2 rIdx=0 oIdx=0 buffer=0 iui=0
v_mfma_f64_16x16x4f64 v[40+0:47+0], v[vgprValuB_X1_I0+8+0+0:vgprValuB_X1_I0+8+0+0+1], v[vgprG2LA+12+0:vgprG2LA+12+0+1], v[40:47]
 // Cr += Ar*Br
/*  mfmaIndex:57  */
_ds_load_b128 v[vgprValuB_X0_I0+12:vgprValuB_X0_I0+12+3], v[vgprLocalReadAddrB] offset:8960 // L -> Reg lro=0 swapByteOffset=8192 ti=16 vIdx=3 rIdx=0 oIdx=0 buffer=0 iui=0
v_mfma_f64_16x16x4f64 v[104+0:111+0], v[vgprValuB_X1_I0+8+0+0:vgprValuB_X1_I0+8+0+0+1], v[vgprG2LA+12+0+2:vgprG2LA+12+0+2+1], v[104:111]
 // Ci += Ai*Br
/*  mfmaIndex:58  */
v_mfma_f64_16x16x4f64 v[40+0:47+0], v[vgprValuB_X1_I0+8+0+0+2:vgprValuB_X1_I0+8+0+0+2+1], v[vgprG2LA+12+0+2:vgprG2LA+12+0+2+1], v[40:47]
 // Cr += Ai*Bi
/*  mfmaIndex:59  */
v_mfma_f64_16x16x4f64 v[104+0:111+0], v[vgprValuB_X1_I0+8+0+0+2:vgprValuB_X1_I0+8+0+0+2+1], v[220:221], v[104:111]
 // Ci += -Ar*Bi
_global_load_b128 v[vgprG2LA0+8:vgprG2LA0+8+3], v[vgprGlobalReadAddrA+4:vgprGlobalReadAddrA+4+1], off, offset:0 // G -> Reg 0_0_1_0
/*  mfmaIndex:60  */
v_mfma_f64_16x16x4f64 v[56+0:63+0], v[vgprValuB_X1_I0+12+0+0:vgprValuB_X1_I0+12+0+0+1], v[vgprG2LA+12+0:vgprG2LA+12+0+1], v[56:63]
 // Cr += Ar*Br
/*  mfmaIndex:61  */
v_mfma_f64_16x16x4f64 v[120+0:127+0], v[vgprValuB_X1_I0+12+0+0:vgprValuB_X1_I0+12+0+0+1], v[vgprG2LA+12+0+2:vgprG2LA+12+0+2+1], v[120:127]
 // Ci += Ai*Br
/*  mfmaIndex:62  */
v_mfma_f64_16x16x4f64 v[56+0:63+0], v[vgprValuB_X1_I0+12+0+0+2:vgprValuB_X1_I0+12+0+0+2+1], v[vgprG2LA+12+0+2:vgprG2LA+12+0+2+1], v[56:63]
 // Cr += Ai*Bi
/*  mfmaIndex:63  */
v_mfma_f64_16x16x4f64 v[120+0:127+0], v[vgprValuB_X1_I0+12+0+0+2:vgprValuB_X1_I0+12+0+0+2+1], v[220:221], v[120:127]
 // Ci += -Ar*Bi
_global_load_b128 v[vgprG2LA0+12:vgprG2LA0+12+3], v[vgprGlobalReadAddrA+6:vgprGlobalReadAddrA+6+1], off, offset:0 // G -> Reg 1_0_1_0
/* numPrefetchIter=1 */
/* dataAtIterA=0 numReadsIterA=1 skipReadsIterA=1 readsPerIterA=2 */
/* dataAtIterB=0 numReadsIterB=1 skipReadsIterB=1 readsPerIterB=4 */


/******************************************/
/* Unrolled Loop - End 1/2                */
/******************************************/


/* closeLoop loopL finalLoop=0 tailLoop=0 */
s_sub_u32 s[sgprLoopCounterL], s[sgprLoopCounterL], 1 // dec counterL
s_cmp_eq_i32 s[sgprLoopCounterL], 0x2              // counterL==2
s_cbranch_scc1 LoopEndL_oddexit_3                  // exit LoopL


/******************************************/
/* Unrolled Loop 2/2 - Begin              */
/******************************************/

label_0016: // LoopCopy2 


/* Begin Each Unroll: Check VGPR.checkin for INT8 LW */


	;; [unrolled: 1-line block ×3, first 2 shown]
/* iter 0 (reset local read pointers iteration)  (swap and reset local write pointers iteration)  (swap local read pointers iteration)  */

s_waitcnt vmcnt(8)                                 // lgkmcnt=-1 vmcnt=8global read wait for DirectToVgpr

/*  grEndMfmaIndex:4, lwStartMfmaIndex:24, lwEndMfmaIndex:31  */
/*  numMfmaForLR:10, barrierMfmaIndex:53, LocalWritePerMfma:0.165 */
/*  mfmaIndex:0  */
s_waitcnt lgkmcnt(0)                               // lgkmcnt=0 vmcnt=-1wait for prior local read local write old=0, new=0 newLW=0 newLR=0
v_add_f64 v[220:221], -v[vgprG2LA+16+0:vgprG2LA+16+0+1], 0 // Ar=-Ar
v_mfma_f64_16x16x4f64 v[0+0:7+0], v[vgprValuB_X0_I0+0+0+0:vgprValuB_X0_I0+0+0+0+1], v[vgprG2LA+16+0:vgprG2LA+16+0+1], v[0:7]
 // Cr += Ar*Br
/*  mfmaIndex:1  */
_ds_load_b128 v[vgprValuB_X1_I0+0:vgprValuB_X1_I0+0+3], v[vgprLocalReadAddrB] offset:12288 // L -> Reg lro=256 swapByteOffset=8192 ti=16 vIdx=0 rIdx=0 oIdx=0 buffer=1 iui=0

/* global read inc B loopL */
_v_add_co_u32  v[vgprGlobalReadAddrB+0+0], vcc, v[vgprGlobalReadAddrB+0+0], v[vgprGlobalReadIncsB+0+0] // gra += incBL (lower)
_v_addc_co_u32 v[vgprGlobalReadAddrB+0+1], vcc, v[vgprGlobalReadAddrB+0+1], v[vgprGlobalReadIncsB+0+1], vcc // gra += incBL (upper)
_v_add_co_u32  v[vgprGlobalReadAddrB+2+0], vcc, v[vgprGlobalReadAddrB+2+0], v[vgprGlobalReadIncsB+0+0] // gra += incBL (lower)
v_mfma_f64_16x16x4f64 v[64+0:71+0], v[vgprValuB_X0_I0+0+0+0:vgprValuB_X0_I0+0+0+0+1], v[vgprG2LA+16+0+2:vgprG2LA+16+0+2+1], v[64:71]
 // Ci += Ai*Br
/*  mfmaIndex:2  */
_ds_load_b128 v[vgprValuB_X1_I0+4:vgprValuB_X1_I0+4+3], v[vgprLocalReadAddrB] offset:12544 // L -> Reg lro=256 swapByteOffset=8192 ti=16 vIdx=1 rIdx=0 oIdx=0 buffer=1 iui=0
_v_addc_co_u32 v[vgprGlobalReadAddrB+2+1], vcc, v[vgprGlobalReadAddrB+2+1], v[vgprGlobalReadIncsB+0+1], vcc // gra += incBL (upper)

/* global read inc A loopL */
_v_add_co_u32  v[vgprGlobalReadAddrA+0+0], vcc, v[vgprGlobalReadAddrA+0+0], v[vgprGlobalReadIncsA+0+0] // gra += incAL (lower)
_v_addc_co_u32 v[vgprGlobalReadAddrA+0+1], vcc, v[vgprGlobalReadAddrA+0+1], v[vgprGlobalReadIncsA+0+1], vcc // gra += incAL (upper)
v_mfma_f64_16x16x4f64 v[0+0:7+0], v[vgprValuB_X0_I0+0+0+0+2:vgprValuB_X0_I0+0+0+0+2+1], v[vgprG2LA+16+0+2:vgprG2LA+16+0+2+1], v[0:7]
 // Cr += Ai*Bi
/*  mfmaIndex:3  */
_ds_load_b128 v[vgprValuB_X1_I0+8:vgprValuB_X1_I0+8+3], v[vgprLocalReadAddrB] offset:12800 // L -> Reg lro=256 swapByteOffset=8192 ti=16 vIdx=2 rIdx=0 oIdx=0 buffer=1 iui=0
_v_add_co_u32  v[vgprGlobalReadAddrA+2+0], vcc, v[vgprGlobalReadAddrA+2+0], v[vgprGlobalReadIncsA+0+0] // gra += incAL (lower)
_v_addc_co_u32 v[vgprGlobalReadAddrA+2+1], vcc, v[vgprGlobalReadAddrA+2+1], v[vgprGlobalReadIncsA+0+1], vcc // gra += incAL (upper)
_v_add_co_u32  v[vgprGlobalReadAddrA+4+0], vcc, v[vgprGlobalReadAddrA+4+0], v[vgprGlobalReadIncsA+0+0] // gra += incAL (lower)
v_mfma_f64_16x16x4f64 v[64+0:71+0], v[vgprValuB_X0_I0+0+0+0+2:vgprValuB_X0_I0+0+0+0+2+1], v[220:221], v[64:71]
 // Ci += -Ar*Bi
/*  mfmaIndex:4  */
_ds_load_b128 v[vgprValuB_X1_I0+12:vgprValuB_X1_I0+12+3], v[vgprLocalReadAddrB] offset:13056 // L -> Reg lro=256 swapByteOffset=8192 ti=16 vIdx=3 rIdx=0 oIdx=0 buffer=1 iui=0
/* localReadsVacancy: latencyLeft 1 */
_v_addc_co_u32 v[vgprGlobalReadAddrA+4+1], vcc, v[vgprGlobalReadAddrA+4+1], v[vgprGlobalReadIncsA+0+1], vcc // gra += incAL (upper)
_v_add_co_u32  v[vgprGlobalReadAddrA+6+0], vcc, v[vgprGlobalReadAddrA+6+0], v[vgprGlobalReadIncsA+0+0] // gra += incAL (lower)
_v_addc_co_u32 v[vgprGlobalReadAddrA+6+1], vcc, v[vgprGlobalReadAddrA+6+1], v[vgprGlobalReadIncsA+0+1], vcc // gra += incAL (upper)
v_mfma_f64_16x16x4f64 v[16+0:23+0], v[vgprValuB_X0_I0+4+0+0:vgprValuB_X0_I0+4+0+0+1], v[vgprG2LA+16+0:vgprG2LA+16+0+1], v[16:23]
 // Cr += Ar*Br
/*  mfmaIndex:5  */
/* localReadsVacancy: latencyLeft 5 */
v_mfma_f64_16x16x4f64 v[80+0:87+0], v[vgprValuB_X0_I0+4+0+0:vgprValuB_X0_I0+4+0+0+1], v[vgprG2LA+16+0+2:vgprG2LA+16+0+2+1], v[80:87]
 // Ci += Ai*Br
/*  mfmaIndex:6  */
/* localReadsVacancy: latencyLeft 5 */
v_mfma_f64_16x16x4f64 v[16+0:23+0], v[vgprValuB_X0_I0+4+0+0+2:vgprValuB_X0_I0+4+0+0+2+1], v[vgprG2LA+16+0+2:vgprG2LA+16+0+2+1], v[16:23]
 // Cr += Ai*Bi
/*  mfmaIndex:7  */
/* localReadsVacancy: latencyLeft 5 */
v_mfma_f64_16x16x4f64 v[80+0:87+0], v[vgprValuB_X0_I0+4+0+0+2:vgprValuB_X0_I0+4+0+0+2+1], v[220:221], v[80:87]
 // Ci += -Ar*Bi
/*  mfmaIndex:8  */
/* localReadsVacancy: latencyLeft 5 */
v_mfma_f64_16x16x4f64 v[32+0:39+0], v[vgprValuB_X0_I0+8+0+0:vgprValuB_X0_I0+8+0+0+1], v[vgprG2LA+16+0:vgprG2LA+16+0+1], v[32:39]
 // Cr += Ar*Br
/*  mfmaIndex:9  */
/* localReadsVacancy: latencyLeft 5 */
v_mfma_f64_16x16x4f64 v[96+0:103+0], v[vgprValuB_X0_I0+8+0+0:vgprValuB_X0_I0+8+0+0+1], v[vgprG2LA+16+0+2:vgprG2LA+16+0+2+1], v[96:103]
 // Ci += Ai*Br
/*  mfmaIndex:10  */
/* localReadsVacancy: latencyLeft 5 */
v_mfma_f64_16x16x4f64 v[32+0:39+0], v[vgprValuB_X0_I0+8+0+0+2:vgprValuB_X0_I0+8+0+0+2+1], v[vgprG2LA+16+0+2:vgprG2LA+16+0+2+1], v[32:39]
 // Cr += Ai*Bi
/*  mfmaIndex:11  */
/* localReadsVacancy: latencyLeft 5 */
v_mfma_f64_16x16x4f64 v[96+0:103+0], v[vgprValuB_X0_I0+8+0+0+2:vgprValuB_X0_I0+8+0+0+2+1], v[220:221], v[96:103]
 // Ci += -Ar*Bi
/*  mfmaIndex:12  */
/* localReadsVacancy: latencyLeft 5 */
	;; [unrolled: 16-line block ×3, first 2 shown]
v_add_f64 v[220:221], -v[vgprG2LA+20+0:vgprG2LA+20+0+1], 0 // Ar=-Ar
v_mfma_f64_16x16x4f64 v[8+0:15+0], v[vgprValuB_X0_I0+0+0+0:vgprValuB_X0_I0+0+0+0+1], v[vgprG2LA+20+0:vgprG2LA+20+0+1], v[8:15]
 // Cr += Ar*Br
/*  mfmaIndex:17  */
/* localReadsVacancy: latencyLeft 5 */
v_mfma_f64_16x16x4f64 v[72+0:79+0], v[vgprValuB_X0_I0+0+0+0:vgprValuB_X0_I0+0+0+0+1], v[vgprG2LA+20+0+2:vgprG2LA+20+0+2+1], v[72:79]
 // Ci += Ai*Br
/*  mfmaIndex:18  */
/* localReadsVacancy: latencyLeft 5 */
v_mfma_f64_16x16x4f64 v[8+0:15+0], v[vgprValuB_X0_I0+0+0+0+2:vgprValuB_X0_I0+0+0+0+2+1], v[vgprG2LA+20+0+2:vgprG2LA+20+0+2+1], v[8:15]
 // Cr += Ai*Bi
/*  mfmaIndex:19  */
/* localReadsVacancy: latencyLeft 5 */
v_mfma_f64_16x16x4f64 v[72+0:79+0], v[vgprValuB_X0_I0+0+0+0+2:vgprValuB_X0_I0+0+0+0+2+1], v[220:221], v[72:79]
 // Ci += -Ar*Bi
/*  mfmaIndex:20  */
/* localReadsVacancy: latencyLeft 5 */
v_mfma_f64_16x16x4f64 v[24+0:31+0], v[vgprValuB_X0_I0+4+0+0:vgprValuB_X0_I0+4+0+0+1], v[vgprG2LA+20+0:vgprG2LA+20+0+1], v[24:31]
 // Cr += Ar*Br
/*  mfmaIndex:21  */
/* localReadsVacancy: latencyLeft 5 */
v_mfma_f64_16x16x4f64 v[88+0:95+0], v[vgprValuB_X0_I0+4+0+0:vgprValuB_X0_I0+4+0+0+1], v[vgprG2LA+20+0+2:vgprG2LA+20+0+2+1], v[88:95]
 // Ci += Ai*Br
/*  mfmaIndex:22  */
/* localReadsVacancy: latencyLeft 5 */
v_mfma_f64_16x16x4f64 v[24+0:31+0], v[vgprValuB_X0_I0+4+0+0+2:vgprValuB_X0_I0+4+0+0+2+1], v[vgprG2LA+20+0+2:vgprG2LA+20+0+2+1], v[24:31]
 // Cr += Ai*Bi
/*  mfmaIndex:23  */
/* localReadsVacancy: latencyLeft 5 */
v_mfma_f64_16x16x4f64 v[88+0:95+0], v[vgprValuB_X0_I0+4+0+0+2:vgprValuB_X0_I0+4+0+0+2+1], v[220:221], v[88:95]
 // Ci += -Ar*Bi
/*  mfmaIndex:24  */
/* sched write - iter 0 writesPerItem=1 */
s_waitcnt vmcnt(0)                                 // lgkmcnt=-1 vmcnt=0wait for global read before writing to local
_ds_store_b128 v[vgprLocalWriteAddrB], v[vgprG2LB+0:vgprG2LB+0+3] offset:0 // lwoB_0_0_0_0 = (0*LSCB) + (0*LSPB)(*MT1J+PAD) = 0
v_mfma_f64_16x16x4f64 v[40+0:47+0], v[vgprValuB_X0_I0+8+0+0:vgprValuB_X0_I0+8+0+0+1], v[vgprG2LA+20+0:vgprG2LA+20+0+1], v[40:47]
 // Cr += Ar*Br
/*  mfmaIndex:25  */
/* localReadsVacancy: latencyLeft 5 */
_global_load_b128 v[vgprG2LB+0:vgprG2LB+0+3], v[vgprGlobalReadAddrB+0:vgprGlobalReadAddrB+0+1], off, offset:0 // G -> Reg 0_0_0_0
v_mfma_f64_16x16x4f64 v[104+0:111+0], v[vgprValuB_X0_I0+8+0+0:vgprValuB_X0_I0+8+0+0+1], v[vgprG2LA+20+0+2:vgprG2LA+20+0+2+1], v[104:111]
 // Ci += Ai*Br
/*  mfmaIndex:26  */
/* localReadsVacancy: latencyLeft 5 */
v_mfma_f64_16x16x4f64 v[40+0:47+0], v[vgprValuB_X0_I0+8+0+0+2:vgprValuB_X0_I0+8+0+0+2+1], v[vgprG2LA+20+0+2:vgprG2LA+20+0+2+1], v[40:47]
 // Cr += Ai*Bi
/*  mfmaIndex:27  */
/* localReadsVacancy: latencyLeft 5 */
v_mfma_f64_16x16x4f64 v[104+0:111+0], v[vgprValuB_X0_I0+8+0+0+2:vgprValuB_X0_I0+8+0+0+2+1], v[220:221], v[104:111]
 // Ci += -Ar*Bi
/*  mfmaIndex:28  */
/* localReadsVacancy: latencyLeft 5 */
v_mfma_f64_16x16x4f64 v[56+0:63+0], v[vgprValuB_X0_I0+12+0+0:vgprValuB_X0_I0+12+0+0+1], v[vgprG2LA+20+0:vgprG2LA+20+0+1], v[56:63]
 // Cr += Ar*Br
/*  mfmaIndex:29  */
/* localReadsVacancy: latencyLeft 5 */
v_mfma_f64_16x16x4f64 v[120+0:127+0], v[vgprValuB_X0_I0+12+0+0:vgprValuB_X0_I0+12+0+0+1], v[vgprG2LA+20+0+2:vgprG2LA+20+0+2+1], v[120:127]
 // Ci += Ai*Br
/*  mfmaIndex:30  */
/* sched write - iter 0 writesPerItem=1 */
s_waitcnt vmcnt(0)                                 // lgkmcnt=-1 vmcnt=0wait for global read before writing to local
_ds_store_b128 v[vgprLocalWriteAddrB], v[vgprG2LB+4:vgprG2LB+4+3] offset:4096 // lwoB_0_0_1_0 = (0*LSCB) + (1*LSPB)(*MT1J+PAD) = 4096
v_mfma_f64_16x16x4f64 v[56+0:63+0], v[vgprValuB_X0_I0+12+0+0+2:vgprValuB_X0_I0+12+0+0+2+1], v[vgprG2LA+20+0+2:vgprG2LA+20+0+2+1], v[56:63]
 // Cr += Ai*Bi
/*  mfmaIndex:31  */
/* localReadsVacancy: latencyLeft 5 */
_global_load_b128 v[vgprG2LB+4:vgprG2LB+4+3], v[vgprGlobalReadAddrB+2:vgprGlobalReadAddrB+2+1], off, offset:0 // G -> Reg 0_0_1_0

/* local write swap offsets a */

/* (EPS=1) local write swap internal offset -> 8192 */

/* local write swap offsets b */

/* (EPS=1) local write swap internal offset -> 8192 */

/* local read swap offsets a */

/* local read swap offsets b */

/* local read swap internal offset -> 0 */

/* local read init pointers a */

/* local read init pointers b */

/* localReadInitPointers */
v_mfma_f64_16x16x4f64 v[120+0:127+0], v[vgprValuB_X0_I0+12+0+0+2:vgprValuB_X0_I0+12+0+0+2+1], v[220:221], v[120:127]
 // Ci += -Ar*Bi
/* numPrefetchIter=0 */
/* dataAtIterA=-1 numReadsIterA=1 skipReadsIterA=1 readsPerIterA=2 */
/* dataAtIterB=-1 numReadsIterB=1 skipReadsIterB=1 readsPerIterB=4 */


/* iter 1 */

/*  grEndMfmaIndex:4, lwStartMfmaIndex:24, lwEndMfmaIndex:31  */
/*  numMfmaForLR:10, barrierMfmaIndex:53, LocalWritePerMfma:0.165 */
/*  mfmaIndex:32  */
s_waitcnt lgkmcnt(2)                               // lgkmcnt=0 vmcnt=-1wait for prior local read local write old=0, new=2 newLW=2 newLR=0
v_add_f64 v[220:221], -v[vgprG2LA+24+0:vgprG2LA+24+0+1], 0 // Ar=-Ar
v_mfma_f64_16x16x4f64 v[0+0:7+0], v[vgprValuB_X1_I0+0+0+0:vgprValuB_X1_I0+0+0+0+1], v[vgprG2LA+24+0:vgprG2LA+24+0+1], v[0:7]
 // Cr += Ar*Br
/*  mfmaIndex:33  */
v_mfma_f64_16x16x4f64 v[64+0:71+0], v[vgprValuB_X1_I0+0+0+0:vgprValuB_X1_I0+0+0+0+1], v[vgprG2LA+24+0+2:vgprG2LA+24+0+2+1], v[64:71]
 // Ci += Ai*Br
/*  mfmaIndex:34  */
v_mfma_f64_16x16x4f64 v[0+0:7+0], v[vgprValuB_X1_I0+0+0+0+2:vgprValuB_X1_I0+0+0+0+2+1], v[vgprG2LA+24+0+2:vgprG2LA+24+0+2+1], v[0:7]
 // Cr += Ai*Bi
/*  mfmaIndex:35  */
v_mfma_f64_16x16x4f64 v[64+0:71+0], v[vgprValuB_X1_I0+0+0+0+2:vgprValuB_X1_I0+0+0+0+2+1], v[220:221], v[64:71]
 // Ci += -Ar*Bi
/*  mfmaIndex:36  */
v_mfma_f64_16x16x4f64 v[16+0:23+0], v[vgprValuB_X1_I0+4+0+0:vgprValuB_X1_I0+4+0+0+1], v[vgprG2LA+24+0:vgprG2LA+24+0+1], v[16:23]
 // Cr += Ar*Br
/*  mfmaIndex:37  */
v_mfma_f64_16x16x4f64 v[80+0:87+0], v[vgprValuB_X1_I0+4+0+0:vgprValuB_X1_I0+4+0+0+1], v[vgprG2LA+24+0+2:vgprG2LA+24+0+2+1], v[80:87]
 // Ci += Ai*Br
/*  mfmaIndex:38  */
v_mfma_f64_16x16x4f64 v[16+0:23+0], v[vgprValuB_X1_I0+4+0+0+2:vgprValuB_X1_I0+4+0+0+2+1], v[vgprG2LA+24+0+2:vgprG2LA+24+0+2+1], v[16:23]
 // Cr += Ai*Bi
/*  mfmaIndex:39  */
v_mfma_f64_16x16x4f64 v[80+0:87+0], v[vgprValuB_X1_I0+4+0+0+2:vgprValuB_X1_I0+4+0+0+2+1], v[220:221], v[80:87]
 // Ci += -Ar*Bi
/*  mfmaIndex:40  */
	;; [unrolled: 12-line block ×4, first 2 shown]
v_add_f64 v[220:221], -v[vgprG2LA+28+0:vgprG2LA+28+0+1], 0 // Ar=-Ar
v_mfma_f64_16x16x4f64 v[8+0:15+0], v[vgprValuB_X1_I0+0+0+0:vgprValuB_X1_I0+0+0+0+1], v[vgprG2LA+28+0:vgprG2LA+28+0+1], v[8:15]
 // Cr += Ar*Br
/*  mfmaIndex:49  */
v_mfma_f64_16x16x4f64 v[72+0:79+0], v[vgprValuB_X1_I0+0+0+0:vgprValuB_X1_I0+0+0+0+1], v[vgprG2LA+28+0+2:vgprG2LA+28+0+2+1], v[72:79]
 // Ci += Ai*Br
/*  mfmaIndex:50  */
v_mfma_f64_16x16x4f64 v[8+0:15+0], v[vgprValuB_X1_I0+0+0+0+2:vgprValuB_X1_I0+0+0+0+2+1], v[vgprG2LA+28+0+2:vgprG2LA+28+0+2+1], v[8:15]
 // Cr += Ai*Bi
/*  mfmaIndex:51  */
v_mfma_f64_16x16x4f64 v[72+0:79+0], v[vgprValuB_X1_I0+0+0+0+2:vgprValuB_X1_I0+0+0+0+2+1], v[220:221], v[72:79]
 // Ci += -Ar*Bi
_global_load_b128 v[vgprG2LA1+0:vgprG2LA1+0+3], v[vgprGlobalReadAddrA+0:vgprGlobalReadAddrA+0+1], off, offset:0 // G -> Reg 0_0_0_0
/*  mfmaIndex:52  */
v_mfma_f64_16x16x4f64 v[24+0:31+0], v[vgprValuB_X1_I0+4+0+0:vgprValuB_X1_I0+4+0+0+1], v[vgprG2LA+28+0:vgprG2LA+28+0+1], v[24:31]
 // Cr += Ar*Br
/*  mfmaIndex:53  */
s_waitcnt lgkmcnt(0)                               // lgkmcnt=0 vmcnt=-13wait for local write
s_barrier
v_mfma_f64_16x16x4f64 v[88+0:95+0], v[vgprValuB_X1_I0+4+0+0:vgprValuB_X1_I0+4+0+0+1], v[vgprG2LA+28+0+2:vgprG2LA+28+0+2+1], v[88:95]
 // Ci += Ai*Br
/*  mfmaIndex:54  */
_ds_load_b128 v[vgprValuB_X0_I0+0:vgprValuB_X0_I0+0+3], v[vgprLocalReadAddrB] offset:0 // L -> Reg lro=0 swapByteOffset=0 ti=16 vIdx=0 rIdx=0 oIdx=0 buffer=0 iui=0
v_mfma_f64_16x16x4f64 v[24+0:31+0], v[vgprValuB_X1_I0+4+0+0+2:vgprValuB_X1_I0+4+0+0+2+1], v[vgprG2LA+28+0+2:vgprG2LA+28+0+2+1], v[24:31]
 // Cr += Ai*Bi
/*  mfmaIndex:55  */
_ds_load_b128 v[vgprValuB_X0_I0+4:vgprValuB_X0_I0+4+3], v[vgprLocalReadAddrB] offset:256 // L -> Reg lro=0 swapByteOffset=0 ti=16 vIdx=1 rIdx=0 oIdx=0 buffer=0 iui=0
v_mfma_f64_16x16x4f64 v[88+0:95+0], v[vgprValuB_X1_I0+4+0+0+2:vgprValuB_X1_I0+4+0+0+2+1], v[220:221], v[88:95]
 // Ci += -Ar*Bi
_global_load_b128 v[vgprG2LA1+4:vgprG2LA1+4+3], v[vgprGlobalReadAddrA+2:vgprGlobalReadAddrA+2+1], off, offset:0 // G -> Reg 1_0_0_0
/*  mfmaIndex:56  */
_ds_load_b128 v[vgprValuB_X0_I0+8:vgprValuB_X0_I0+8+3], v[vgprLocalReadAddrB] offset:512 // L -> Reg lro=0 swapByteOffset=0 ti=16 vIdx=2 rIdx=0 oIdx=0 buffer=0 iui=0
v_mfma_f64_16x16x4f64 v[40+0:47+0], v[vgprValuB_X1_I0+8+0+0:vgprValuB_X1_I0+8+0+0+1], v[vgprG2LA+28+0:vgprG2LA+28+0+1], v[40:47]
 // Cr += Ar*Br
/*  mfmaIndex:57  */
_ds_load_b128 v[vgprValuB_X0_I0+12:vgprValuB_X0_I0+12+3], v[vgprLocalReadAddrB] offset:768 // L -> Reg lro=0 swapByteOffset=0 ti=16 vIdx=3 rIdx=0 oIdx=0 buffer=0 iui=0
v_mfma_f64_16x16x4f64 v[104+0:111+0], v[vgprValuB_X1_I0+8+0+0:vgprValuB_X1_I0+8+0+0+1], v[vgprG2LA+28+0+2:vgprG2LA+28+0+2+1], v[104:111]
 // Ci += Ai*Br
/*  mfmaIndex:58  */
v_mfma_f64_16x16x4f64 v[40+0:47+0], v[vgprValuB_X1_I0+8+0+0+2:vgprValuB_X1_I0+8+0+0+2+1], v[vgprG2LA+28+0+2:vgprG2LA+28+0+2+1], v[40:47]
 // Cr += Ai*Bi
/*  mfmaIndex:59  */
v_mfma_f64_16x16x4f64 v[104+0:111+0], v[vgprValuB_X1_I0+8+0+0+2:vgprValuB_X1_I0+8+0+0+2+1], v[220:221], v[104:111]
 // Ci += -Ar*Bi
_global_load_b128 v[vgprG2LA1+8:vgprG2LA1+8+3], v[vgprGlobalReadAddrA+4:vgprGlobalReadAddrA+4+1], off, offset:0 // G -> Reg 0_0_1_0
/*  mfmaIndex:60  */
v_mfma_f64_16x16x4f64 v[56+0:63+0], v[vgprValuB_X1_I0+12+0+0:vgprValuB_X1_I0+12+0+0+1], v[vgprG2LA+28+0:vgprG2LA+28+0+1], v[56:63]
 // Cr += Ar*Br
/*  mfmaIndex:61  */
v_mfma_f64_16x16x4f64 v[120+0:127+0], v[vgprValuB_X1_I0+12+0+0:vgprValuB_X1_I0+12+0+0+1], v[vgprG2LA+28+0+2:vgprG2LA+28+0+2+1], v[120:127]
 // Ci += Ai*Br
/*  mfmaIndex:62  */
v_mfma_f64_16x16x4f64 v[56+0:63+0], v[vgprValuB_X1_I0+12+0+0+2:vgprValuB_X1_I0+12+0+0+2+1], v[vgprG2LA+28+0+2:vgprG2LA+28+0+2+1], v[56:63]
 // Cr += Ai*Bi
/*  mfmaIndex:63  */
v_mfma_f64_16x16x4f64 v[120+0:127+0], v[vgprValuB_X1_I0+12+0+0+2:vgprValuB_X1_I0+12+0+0+2+1], v[220:221], v[120:127]
 // Ci += -Ar*Bi
_global_load_b128 v[vgprG2LA1+12:vgprG2LA1+12+3], v[vgprGlobalReadAddrA+6:vgprGlobalReadAddrA+6+1], off, offset:0 // G -> Reg 1_0_1_0
/* numPrefetchIter=1 */
/* dataAtIterA=0 numReadsIterA=1 skipReadsIterA=1 readsPerIterA=2 */
/* dataAtIterB=0 numReadsIterB=1 skipReadsIterB=1 readsPerIterB=4 */


/******************************************/
/* Unrolled Loop - End 2/2 (final)        */
/******************************************/


/* closeLoop loopL finalLoop=1 tailLoop=0 */
s_sub_u32 s[sgprLoopCounterL], s[sgprLoopCounterL], 1 // dec counterL
s_cmp_eq_i32 s[sgprLoopCounterL], 0x2              // counterL==2
s_cbranch_scc0 LoopBeginL_1                        // restart LoopL
LoopEndL_evenexit_4: // unroll loop eveniter exit
v_xor_b32 v[vgprLocalWriteAddrB+0], 0x2000, v[vgprLocalWriteAddrB+0] // swap Red Blk

/* (EPS=1) local write swap internal offset -> 0 */

/* (EPS=1) local write swap internal offset -> 0 */
s_branch LoopEndL_2                                // exit unroll loopL (and skip second exit code)
LoopEndL_oddexit_3: // unroll loop odditer exit

/* Select high bank of LDS */
v_xor_b32 v[vgprLocalReadAddrB], 0x2000, v[vgprLocalReadAddrB] // swap Red Blk
LoopEndL_2:


/* Before NLL: Check VGPR.checkin for INT8 LW */


/******************************************/
/* Ord. NoGlobalLoadLoop - Begin                                      */
/******************************************/


s_and_b32 s0, s[sgprOrigLoopCounter], 1            // test if OrigLoopCounter is Odd ?
s_cbranch_scc0 label_0017                          // Skip odd code if OrigLoopCounter is Even


/* iter 0 (reset local read pointers iteration)  (swap and reset local write pointers iteration)  (swap local read pointers iteration)  */

s_waitcnt vmcnt(8)                                 // lgkmcnt=-1 vmcnt=8global read wait for DirectToVgpr

/*  grEndMfmaIndex:4, lwStartMfmaIndex:24, lwEndMfmaIndex:31  */
/*  numMfmaForLR:10, barrierMfmaIndex:53, LocalWritePerMfma:0.165 */
/*  mfmaIndex:0  */
s_waitcnt lgkmcnt(0)                               // lgkmcnt=0 vmcnt=-1wait for prior local read local write old=0, new=0 newLW=0 newLR=0
v_add_f64 v[220:221], -v[vgprG2LA+16+0:vgprG2LA+16+0+1], 0 // Ar=-Ar
v_mfma_f64_16x16x4f64 v[0+0:7+0], v[vgprValuB_X0_I0+0+0+0:vgprValuB_X0_I0+0+0+0+1], v[vgprG2LA+16+0:vgprG2LA+16+0+1], v[0:7]
 // Cr += Ar*Br
/*  mfmaIndex:1  */
_ds_load_b128 v[vgprValuB_X1_I0+0:vgprValuB_X1_I0+0+3], v[vgprLocalReadAddrB] offset:4096 // L -> Reg lro=256 swapByteOffset=0 ti=16 vIdx=0 rIdx=0 oIdx=0 buffer=1 iui=0

/* global read inc B loopL */
_v_add_co_u32  v[vgprGlobalReadAddrB+0+0], vcc, v[vgprGlobalReadAddrB+0+0], v[vgprGlobalReadIncsB+0+0] // gra += incBL (lower)
_v_addc_co_u32 v[vgprGlobalReadAddrB+0+1], vcc, v[vgprGlobalReadAddrB+0+1], v[vgprGlobalReadIncsB+0+1], vcc // gra += incBL (upper)
_v_add_co_u32  v[vgprGlobalReadAddrB+2+0], vcc, v[vgprGlobalReadAddrB+2+0], v[vgprGlobalReadIncsB+0+0] // gra += incBL (lower)
v_mfma_f64_16x16x4f64 v[64+0:71+0], v[vgprValuB_X0_I0+0+0+0:vgprValuB_X0_I0+0+0+0+1], v[vgprG2LA+16+0+2:vgprG2LA+16+0+2+1], v[64:71]
 // Ci += Ai*Br
/*  mfmaIndex:2  */
_ds_load_b128 v[vgprValuB_X1_I0+4:vgprValuB_X1_I0+4+3], v[vgprLocalReadAddrB] offset:4352 // L -> Reg lro=256 swapByteOffset=0 ti=16 vIdx=1 rIdx=0 oIdx=0 buffer=1 iui=0
_v_addc_co_u32 v[vgprGlobalReadAddrB+2+1], vcc, v[vgprGlobalReadAddrB+2+1], v[vgprGlobalReadIncsB+0+1], vcc // gra += incBL (upper)

/* global read inc A loopL */
_v_add_co_u32  v[vgprGlobalReadAddrA+0+0], vcc, v[vgprGlobalReadAddrA+0+0], v[vgprGlobalReadIncsA+0+0] // gra += incAL (lower)
_v_addc_co_u32 v[vgprGlobalReadAddrA+0+1], vcc, v[vgprGlobalReadAddrA+0+1], v[vgprGlobalReadIncsA+0+1], vcc // gra += incAL (upper)
v_mfma_f64_16x16x4f64 v[0+0:7+0], v[vgprValuB_X0_I0+0+0+0+2:vgprValuB_X0_I0+0+0+0+2+1], v[vgprG2LA+16+0+2:vgprG2LA+16+0+2+1], v[0:7]
 // Cr += Ai*Bi
/*  mfmaIndex:3  */
_ds_load_b128 v[vgprValuB_X1_I0+8:vgprValuB_X1_I0+8+3], v[vgprLocalReadAddrB] offset:4608 // L -> Reg lro=256 swapByteOffset=0 ti=16 vIdx=2 rIdx=0 oIdx=0 buffer=1 iui=0
_v_add_co_u32  v[vgprGlobalReadAddrA+2+0], vcc, v[vgprGlobalReadAddrA+2+0], v[vgprGlobalReadIncsA+0+0] // gra += incAL (lower)
_v_addc_co_u32 v[vgprGlobalReadAddrA+2+1], vcc, v[vgprGlobalReadAddrA+2+1], v[vgprGlobalReadIncsA+0+1], vcc // gra += incAL (upper)
_v_add_co_u32  v[vgprGlobalReadAddrA+4+0], vcc, v[vgprGlobalReadAddrA+4+0], v[vgprGlobalReadIncsA+0+0] // gra += incAL (lower)
v_mfma_f64_16x16x4f64 v[64+0:71+0], v[vgprValuB_X0_I0+0+0+0+2:vgprValuB_X0_I0+0+0+0+2+1], v[220:221], v[64:71]
 // Ci += -Ar*Bi
/*  mfmaIndex:4  */
_ds_load_b128 v[vgprValuB_X1_I0+12:vgprValuB_X1_I0+12+3], v[vgprLocalReadAddrB] offset:4864 // L -> Reg lro=256 swapByteOffset=0 ti=16 vIdx=3 rIdx=0 oIdx=0 buffer=1 iui=0
/* localReadsVacancy: latencyLeft 1 */
_v_addc_co_u32 v[vgprGlobalReadAddrA+4+1], vcc, v[vgprGlobalReadAddrA+4+1], v[vgprGlobalReadIncsA+0+1], vcc // gra += incAL (upper)
_v_add_co_u32  v[vgprGlobalReadAddrA+6+0], vcc, v[vgprGlobalReadAddrA+6+0], v[vgprGlobalReadIncsA+0+0] // gra += incAL (lower)
_v_addc_co_u32 v[vgprGlobalReadAddrA+6+1], vcc, v[vgprGlobalReadAddrA+6+1], v[vgprGlobalReadIncsA+0+1], vcc // gra += incAL (upper)
v_mfma_f64_16x16x4f64 v[16+0:23+0], v[vgprValuB_X0_I0+4+0+0:vgprValuB_X0_I0+4+0+0+1], v[vgprG2LA+16+0:vgprG2LA+16+0+1], v[16:23]
 // Cr += Ar*Br
/*  mfmaIndex:5  */
/* localReadsVacancy: latencyLeft 5 */
v_mfma_f64_16x16x4f64 v[80+0:87+0], v[vgprValuB_X0_I0+4+0+0:vgprValuB_X0_I0+4+0+0+1], v[vgprG2LA+16+0+2:vgprG2LA+16+0+2+1], v[80:87]
 // Ci += Ai*Br
/*  mfmaIndex:6  */
/* localReadsVacancy: latencyLeft 5 */
v_mfma_f64_16x16x4f64 v[16+0:23+0], v[vgprValuB_X0_I0+4+0+0+2:vgprValuB_X0_I0+4+0+0+2+1], v[vgprG2LA+16+0+2:vgprG2LA+16+0+2+1], v[16:23]
 // Cr += Ai*Bi
/*  mfmaIndex:7  */
/* localReadsVacancy: latencyLeft 5 */
v_mfma_f64_16x16x4f64 v[80+0:87+0], v[vgprValuB_X0_I0+4+0+0+2:vgprValuB_X0_I0+4+0+0+2+1], v[220:221], v[80:87]
 // Ci += -Ar*Bi
/*  mfmaIndex:8  */
/* localReadsVacancy: latencyLeft 5 */
v_mfma_f64_16x16x4f64 v[32+0:39+0], v[vgprValuB_X0_I0+8+0+0:vgprValuB_X0_I0+8+0+0+1], v[vgprG2LA+16+0:vgprG2LA+16+0+1], v[32:39]
 // Cr += Ar*Br
/*  mfmaIndex:9  */
/* localReadsVacancy: latencyLeft 5 */
v_mfma_f64_16x16x4f64 v[96+0:103+0], v[vgprValuB_X0_I0+8+0+0:vgprValuB_X0_I0+8+0+0+1], v[vgprG2LA+16+0+2:vgprG2LA+16+0+2+1], v[96:103]
 // Ci += Ai*Br
/*  mfmaIndex:10  */
/* localReadsVacancy: latencyLeft 5 */
v_mfma_f64_16x16x4f64 v[32+0:39+0], v[vgprValuB_X0_I0+8+0+0+2:vgprValuB_X0_I0+8+0+0+2+1], v[vgprG2LA+16+0+2:vgprG2LA+16+0+2+1], v[32:39]
 // Cr += Ai*Bi
/*  mfmaIndex:11  */
/* localReadsVacancy: latencyLeft 5 */
v_mfma_f64_16x16x4f64 v[96+0:103+0], v[vgprValuB_X0_I0+8+0+0+2:vgprValuB_X0_I0+8+0+0+2+1], v[220:221], v[96:103]
 // Ci += -Ar*Bi
/*  mfmaIndex:12  */
/* localReadsVacancy: latencyLeft 5 */
	;; [unrolled: 16-line block ×3, first 2 shown]
v_add_f64 v[220:221], -v[vgprG2LA+20+0:vgprG2LA+20+0+1], 0 // Ar=-Ar
v_mfma_f64_16x16x4f64 v[8+0:15+0], v[vgprValuB_X0_I0+0+0+0:vgprValuB_X0_I0+0+0+0+1], v[vgprG2LA+20+0:vgprG2LA+20+0+1], v[8:15]
 // Cr += Ar*Br
/*  mfmaIndex:17  */
/* localReadsVacancy: latencyLeft 5 */
v_mfma_f64_16x16x4f64 v[72+0:79+0], v[vgprValuB_X0_I0+0+0+0:vgprValuB_X0_I0+0+0+0+1], v[vgprG2LA+20+0+2:vgprG2LA+20+0+2+1], v[72:79]
 // Ci += Ai*Br
/*  mfmaIndex:18  */
/* localReadsVacancy: latencyLeft 5 */
v_mfma_f64_16x16x4f64 v[8+0:15+0], v[vgprValuB_X0_I0+0+0+0+2:vgprValuB_X0_I0+0+0+0+2+1], v[vgprG2LA+20+0+2:vgprG2LA+20+0+2+1], v[8:15]
 // Cr += Ai*Bi
/*  mfmaIndex:19  */
/* localReadsVacancy: latencyLeft 5 */
v_mfma_f64_16x16x4f64 v[72+0:79+0], v[vgprValuB_X0_I0+0+0+0+2:vgprValuB_X0_I0+0+0+0+2+1], v[220:221], v[72:79]
 // Ci += -Ar*Bi
/*  mfmaIndex:20  */
/* localReadsVacancy: latencyLeft 5 */
v_mfma_f64_16x16x4f64 v[24+0:31+0], v[vgprValuB_X0_I0+4+0+0:vgprValuB_X0_I0+4+0+0+1], v[vgprG2LA+20+0:vgprG2LA+20+0+1], v[24:31]
 // Cr += Ar*Br
/*  mfmaIndex:21  */
/* localReadsVacancy: latencyLeft 5 */
v_mfma_f64_16x16x4f64 v[88+0:95+0], v[vgprValuB_X0_I0+4+0+0:vgprValuB_X0_I0+4+0+0+1], v[vgprG2LA+20+0+2:vgprG2LA+20+0+2+1], v[88:95]
 // Ci += Ai*Br
/*  mfmaIndex:22  */
/* localReadsVacancy: latencyLeft 5 */
v_mfma_f64_16x16x4f64 v[24+0:31+0], v[vgprValuB_X0_I0+4+0+0+2:vgprValuB_X0_I0+4+0+0+2+1], v[vgprG2LA+20+0+2:vgprG2LA+20+0+2+1], v[24:31]
 // Cr += Ai*Bi
/*  mfmaIndex:23  */
/* localReadsVacancy: latencyLeft 5 */
v_mfma_f64_16x16x4f64 v[88+0:95+0], v[vgprValuB_X0_I0+4+0+0+2:vgprValuB_X0_I0+4+0+0+2+1], v[220:221], v[88:95]
 // Ci += -Ar*Bi
/*  mfmaIndex:24  */
/* sched write - iter 0 writesPerItem=1 */
s_waitcnt vmcnt(0)                                 // lgkmcnt=-1 vmcnt=0wait for global read before writing to local
_ds_store_b128 v[vgprLocalWriteAddrB], v[vgprG2LB+0:vgprG2LB+0+3] offset:0 // lwoB_0_0_0_0 = (0*LSCB) + (0*LSPB)(*MT1J+PAD) = 0
v_mfma_f64_16x16x4f64 v[40+0:47+0], v[vgprValuB_X0_I0+8+0+0:vgprValuB_X0_I0+8+0+0+1], v[vgprG2LA+20+0:vgprG2LA+20+0+1], v[40:47]
 // Cr += Ar*Br
/*  mfmaIndex:25  */
/* localReadsVacancy: latencyLeft 5 */
v_mfma_f64_16x16x4f64 v[104+0:111+0], v[vgprValuB_X0_I0+8+0+0:vgprValuB_X0_I0+8+0+0+1], v[vgprG2LA+20+0+2:vgprG2LA+20+0+2+1], v[104:111]
 // Ci += Ai*Br
/*  mfmaIndex:26  */
/* localReadsVacancy: latencyLeft 5 */
v_mfma_f64_16x16x4f64 v[40+0:47+0], v[vgprValuB_X0_I0+8+0+0+2:vgprValuB_X0_I0+8+0+0+2+1], v[vgprG2LA+20+0+2:vgprG2LA+20+0+2+1], v[40:47]
 // Cr += Ai*Bi
/*  mfmaIndex:27  */
/* localReadsVacancy: latencyLeft 5 */
v_mfma_f64_16x16x4f64 v[104+0:111+0], v[vgprValuB_X0_I0+8+0+0+2:vgprValuB_X0_I0+8+0+0+2+1], v[220:221], v[104:111]
 // Ci += -Ar*Bi
/*  mfmaIndex:28  */
/* localReadsVacancy: latencyLeft 5 */
v_mfma_f64_16x16x4f64 v[56+0:63+0], v[vgprValuB_X0_I0+12+0+0:vgprValuB_X0_I0+12+0+0+1], v[vgprG2LA+20+0:vgprG2LA+20+0+1], v[56:63]
 // Cr += Ar*Br
/*  mfmaIndex:29  */
/* localReadsVacancy: latencyLeft 5 */
v_mfma_f64_16x16x4f64 v[120+0:127+0], v[vgprValuB_X0_I0+12+0+0:vgprValuB_X0_I0+12+0+0+1], v[vgprG2LA+20+0+2:vgprG2LA+20+0+2+1], v[120:127]
 // Ci += Ai*Br
/*  mfmaIndex:30  */
/* sched write - iter 0 writesPerItem=1 */
s_waitcnt vmcnt(0)                                 // lgkmcnt=-1 vmcnt=0wait for global read before writing to local
_ds_store_b128 v[vgprLocalWriteAddrB], v[vgprG2LB+4:vgprG2LB+4+3] offset:4096 // lwoB_0_0_1_0 = (0*LSCB) + (1*LSPB)(*MT1J+PAD) = 4096
v_mfma_f64_16x16x4f64 v[56+0:63+0], v[vgprValuB_X0_I0+12+0+0+2:vgprValuB_X0_I0+12+0+0+2+1], v[vgprG2LA+20+0+2:vgprG2LA+20+0+2+1], v[56:63]
 // Cr += Ai*Bi
/*  mfmaIndex:31  */
/* localReadsVacancy: latencyLeft 5 */

/* local write swap offsets a */

/* (EPS=1) local write swap internal offset -> 8192 */

/* local write swap offsets b */

/* (EPS=1) local write swap internal offset -> 8192 */

/* local read swap offsets a */

/* local read swap offsets b */
v_xor_b32 v[vgprLocalReadAddrB], 0x2000, v[vgprLocalReadAddrB] // swap Red Blk

/* local read init pointers a */

/* local read init pointers b */

/* localReadInitPointers */
v_mfma_f64_16x16x4f64 v[120+0:127+0], v[vgprValuB_X0_I0+12+0+0+2:vgprValuB_X0_I0+12+0+0+2+1], v[220:221], v[120:127]
 // Ci += -Ar*Bi
/* numPrefetchIter=0 */
/* dataAtIterA=-1 numReadsIterA=1 skipReadsIterA=1 readsPerIterA=2 */
/* dataAtIterB=-1 numReadsIterB=1 skipReadsIterB=1 readsPerIterB=4 */


/* iter 1 */

/*  grEndMfmaIndex:4, lwStartMfmaIndex:24, lwEndMfmaIndex:31  */
/*  numMfmaForLR:10, barrierMfmaIndex:53, LocalWritePerMfma:0.165 */
/*  mfmaIndex:32  */
s_waitcnt lgkmcnt(2)                               // lgkmcnt=0 vmcnt=-1wait for prior local read local write old=0, new=2 newLW=2 newLR=0
v_add_f64 v[220:221], -v[vgprG2LA+24+0:vgprG2LA+24+0+1], 0 // Ar=-Ar
v_mfma_f64_16x16x4f64 v[0+0:7+0], v[vgprValuB_X1_I0+0+0+0:vgprValuB_X1_I0+0+0+0+1], v[vgprG2LA+24+0:vgprG2LA+24+0+1], v[0:7]
 // Cr += Ar*Br
/*  mfmaIndex:33  */
v_mfma_f64_16x16x4f64 v[64+0:71+0], v[vgprValuB_X1_I0+0+0+0:vgprValuB_X1_I0+0+0+0+1], v[vgprG2LA+24+0+2:vgprG2LA+24+0+2+1], v[64:71]
 // Ci += Ai*Br
/*  mfmaIndex:34  */
v_mfma_f64_16x16x4f64 v[0+0:7+0], v[vgprValuB_X1_I0+0+0+0+2:vgprValuB_X1_I0+0+0+0+2+1], v[vgprG2LA+24+0+2:vgprG2LA+24+0+2+1], v[0:7]
 // Cr += Ai*Bi
/*  mfmaIndex:35  */
v_mfma_f64_16x16x4f64 v[64+0:71+0], v[vgprValuB_X1_I0+0+0+0+2:vgprValuB_X1_I0+0+0+0+2+1], v[220:221], v[64:71]
 // Ci += -Ar*Bi
/*  mfmaIndex:36  */
v_mfma_f64_16x16x4f64 v[16+0:23+0], v[vgprValuB_X1_I0+4+0+0:vgprValuB_X1_I0+4+0+0+1], v[vgprG2LA+24+0:vgprG2LA+24+0+1], v[16:23]
 // Cr += Ar*Br
/*  mfmaIndex:37  */
v_mfma_f64_16x16x4f64 v[80+0:87+0], v[vgprValuB_X1_I0+4+0+0:vgprValuB_X1_I0+4+0+0+1], v[vgprG2LA+24+0+2:vgprG2LA+24+0+2+1], v[80:87]
 // Ci += Ai*Br
/*  mfmaIndex:38  */
v_mfma_f64_16x16x4f64 v[16+0:23+0], v[vgprValuB_X1_I0+4+0+0+2:vgprValuB_X1_I0+4+0+0+2+1], v[vgprG2LA+24+0+2:vgprG2LA+24+0+2+1], v[16:23]
 // Cr += Ai*Bi
/*  mfmaIndex:39  */
v_mfma_f64_16x16x4f64 v[80+0:87+0], v[vgprValuB_X1_I0+4+0+0+2:vgprValuB_X1_I0+4+0+0+2+1], v[220:221], v[80:87]
 // Ci += -Ar*Bi
/*  mfmaIndex:40  */
	;; [unrolled: 12-line block ×4, first 2 shown]
v_add_f64 v[220:221], -v[vgprG2LA+28+0:vgprG2LA+28+0+1], 0 // Ar=-Ar
v_mfma_f64_16x16x4f64 v[8+0:15+0], v[vgprValuB_X1_I0+0+0+0:vgprValuB_X1_I0+0+0+0+1], v[vgprG2LA+28+0:vgprG2LA+28+0+1], v[8:15]
 // Cr += Ar*Br
/*  mfmaIndex:49  */
v_mfma_f64_16x16x4f64 v[72+0:79+0], v[vgprValuB_X1_I0+0+0+0:vgprValuB_X1_I0+0+0+0+1], v[vgprG2LA+28+0+2:vgprG2LA+28+0+2+1], v[72:79]
 // Ci += Ai*Br
/*  mfmaIndex:50  */
v_mfma_f64_16x16x4f64 v[8+0:15+0], v[vgprValuB_X1_I0+0+0+0+2:vgprValuB_X1_I0+0+0+0+2+1], v[vgprG2LA+28+0+2:vgprG2LA+28+0+2+1], v[8:15]
 // Cr += Ai*Bi
/*  mfmaIndex:51  */
v_mfma_f64_16x16x4f64 v[72+0:79+0], v[vgprValuB_X1_I0+0+0+0+2:vgprValuB_X1_I0+0+0+0+2+1], v[220:221], v[72:79]
 // Ci += -Ar*Bi
/*  mfmaIndex:52  */
v_mfma_f64_16x16x4f64 v[24+0:31+0], v[vgprValuB_X1_I0+4+0+0:vgprValuB_X1_I0+4+0+0+1], v[vgprG2LA+28+0:vgprG2LA+28+0+1], v[24:31]
 // Cr += Ar*Br
/*  mfmaIndex:53  */
s_waitcnt lgkmcnt(0)                               // lgkmcnt=0 vmcnt=-13wait for local write
// Skip force waitcnt0
s_barrier //
v_mfma_f64_16x16x4f64 v[88+0:95+0], v[vgprValuB_X1_I0+4+0+0:vgprValuB_X1_I0+4+0+0+1], v[vgprG2LA+28+0+2:vgprG2LA+28+0+2+1], v[88:95]
 // Ci += Ai*Br
/*  mfmaIndex:54  */
_ds_load_b128 v[vgprValuB_X0_I0+0:vgprValuB_X0_I0+0+3], v[vgprLocalReadAddrB] offset:0 // L -> Reg lro=0 swapByteOffset=0 ti=16 vIdx=0 rIdx=0 oIdx=0 buffer=0 iui=0
v_mfma_f64_16x16x4f64 v[24+0:31+0], v[vgprValuB_X1_I0+4+0+0+2:vgprValuB_X1_I0+4+0+0+2+1], v[vgprG2LA+28+0+2:vgprG2LA+28+0+2+1], v[24:31]
 // Cr += Ai*Bi
/*  mfmaIndex:55  */
_ds_load_b128 v[vgprValuB_X0_I0+4:vgprValuB_X0_I0+4+3], v[vgprLocalReadAddrB] offset:256 // L -> Reg lro=0 swapByteOffset=0 ti=16 vIdx=1 rIdx=0 oIdx=0 buffer=0 iui=0
v_mfma_f64_16x16x4f64 v[88+0:95+0], v[vgprValuB_X1_I0+4+0+0+2:vgprValuB_X1_I0+4+0+0+2+1], v[220:221], v[88:95]
 // Ci += -Ar*Bi
/*  mfmaIndex:56  */
_ds_load_b128 v[vgprValuB_X0_I0+8:vgprValuB_X0_I0+8+3], v[vgprLocalReadAddrB] offset:512 // L -> Reg lro=0 swapByteOffset=0 ti=16 vIdx=2 rIdx=0 oIdx=0 buffer=0 iui=0
v_mfma_f64_16x16x4f64 v[40+0:47+0], v[vgprValuB_X1_I0+8+0+0:vgprValuB_X1_I0+8+0+0+1], v[vgprG2LA+28+0:vgprG2LA+28+0+1], v[40:47]
 // Cr += Ar*Br
/*  mfmaIndex:57  */
_ds_load_b128 v[vgprValuB_X0_I0+12:vgprValuB_X0_I0+12+3], v[vgprLocalReadAddrB] offset:768 // L -> Reg lro=0 swapByteOffset=0 ti=16 vIdx=3 rIdx=0 oIdx=0 buffer=0 iui=0
v_mfma_f64_16x16x4f64 v[104+0:111+0], v[vgprValuB_X1_I0+8+0+0:vgprValuB_X1_I0+8+0+0+1], v[vgprG2LA+28+0+2:vgprG2LA+28+0+2+1], v[104:111]
 // Ci += Ai*Br
/*  mfmaIndex:58  */
v_mfma_f64_16x16x4f64 v[40+0:47+0], v[vgprValuB_X1_I0+8+0+0+2:vgprValuB_X1_I0+8+0+0+2+1], v[vgprG2LA+28+0+2:vgprG2LA+28+0+2+1], v[40:47]
 // Cr += Ai*Bi
/*  mfmaIndex:59  */
v_mfma_f64_16x16x4f64 v[104+0:111+0], v[vgprValuB_X1_I0+8+0+0+2:vgprValuB_X1_I0+8+0+0+2+1], v[220:221], v[104:111]
 // Ci += -Ar*Bi
/*  mfmaIndex:60  */
v_mfma_f64_16x16x4f64 v[56+0:63+0], v[vgprValuB_X1_I0+12+0+0:vgprValuB_X1_I0+12+0+0+1], v[vgprG2LA+28+0:vgprG2LA+28+0+1], v[56:63]
 // Cr += Ar*Br
/*  mfmaIndex:61  */
v_mfma_f64_16x16x4f64 v[120+0:127+0], v[vgprValuB_X1_I0+12+0+0:vgprValuB_X1_I0+12+0+0+1], v[vgprG2LA+28+0+2:vgprG2LA+28+0+2+1], v[120:127]
 // Ci += Ai*Br
/*  mfmaIndex:62  */
v_mfma_f64_16x16x4f64 v[56+0:63+0], v[vgprValuB_X1_I0+12+0+0+2:vgprValuB_X1_I0+12+0+0+2+1], v[vgprG2LA+28+0+2:vgprG2LA+28+0+2+1], v[56:63]
 // Cr += Ai*Bi
/*  mfmaIndex:63  */
v_mfma_f64_16x16x4f64 v[120+0:127+0], v[vgprValuB_X1_I0+12+0+0+2:vgprValuB_X1_I0+12+0+0+2+1], v[220:221], v[120:127]
 // Ci += -Ar*Bi
/* numPrefetchIter=1 */
/* dataAtIterA=0 numReadsIterA=1 skipReadsIterA=1 readsPerIterA=2 */
/* dataAtIterB=0 numReadsIterB=1 skipReadsIterB=1 readsPerIterB=4 */

s_branch label_0018                                // Skip even code
label_0017: // EvenStartNoGlobalLoadLoopOrd 


/* iter 0 (reset local read pointers iteration)  (swap and reset local write pointers iteration)  (swap local read pointers iteration)  */

s_waitcnt vmcnt(8)                                 // lgkmcnt=-1 vmcnt=8global read wait for DirectToVgpr

/*  grEndMfmaIndex:4, lwStartMfmaIndex:24, lwEndMfmaIndex:31  */
/*  numMfmaForLR:10, barrierMfmaIndex:53, LocalWritePerMfma:0.165 */
/*  mfmaIndex:0  */
s_waitcnt lgkmcnt(0)                               // lgkmcnt=0 vmcnt=-1wait for prior local read local write old=0, new=0 newLW=0 newLR=0
v_add_f64 v[220:221], -v[vgprG2LA+0+0:vgprG2LA+0+0+1], 0 // Ar=-Ar
v_mfma_f64_16x16x4f64 v[0+0:7+0], v[vgprValuB_X0_I0+0+0+0:vgprValuB_X0_I0+0+0+0+1], v[vgprG2LA+0+0:vgprG2LA+0+0+1], v[0:7]
 // Cr += Ar*Br
/*  mfmaIndex:1  */
_ds_load_b128 v[vgprValuB_X1_I0+0:vgprValuB_X1_I0+0+3], v[vgprLocalReadAddrB] offset:4096 // L -> Reg lro=256 swapByteOffset=0 ti=16 vIdx=0 rIdx=0 oIdx=0 buffer=1 iui=0

/* global read inc B loopL */
_v_add_co_u32  v[vgprGlobalReadAddrB+0+0], vcc, v[vgprGlobalReadAddrB+0+0], v[vgprGlobalReadIncsB+0+0] // gra += incBL (lower)
_v_addc_co_u32 v[vgprGlobalReadAddrB+0+1], vcc, v[vgprGlobalReadAddrB+0+1], v[vgprGlobalReadIncsB+0+1], vcc // gra += incBL (upper)
_v_add_co_u32  v[vgprGlobalReadAddrB+2+0], vcc, v[vgprGlobalReadAddrB+2+0], v[vgprGlobalReadIncsB+0+0] // gra += incBL (lower)
v_mfma_f64_16x16x4f64 v[64+0:71+0], v[vgprValuB_X0_I0+0+0+0:vgprValuB_X0_I0+0+0+0+1], v[vgprG2LA+0+0+2:vgprG2LA+0+0+2+1], v[64:71]
 // Ci += Ai*Br
/*  mfmaIndex:2  */
_ds_load_b128 v[vgprValuB_X1_I0+4:vgprValuB_X1_I0+4+3], v[vgprLocalReadAddrB] offset:4352 // L -> Reg lro=256 swapByteOffset=0 ti=16 vIdx=1 rIdx=0 oIdx=0 buffer=1 iui=0
_v_addc_co_u32 v[vgprGlobalReadAddrB+2+1], vcc, v[vgprGlobalReadAddrB+2+1], v[vgprGlobalReadIncsB+0+1], vcc // gra += incBL (upper)

/* global read inc A loopL */
_v_add_co_u32  v[vgprGlobalReadAddrA+0+0], vcc, v[vgprGlobalReadAddrA+0+0], v[vgprGlobalReadIncsA+0+0] // gra += incAL (lower)
_v_addc_co_u32 v[vgprGlobalReadAddrA+0+1], vcc, v[vgprGlobalReadAddrA+0+1], v[vgprGlobalReadIncsA+0+1], vcc // gra += incAL (upper)
v_mfma_f64_16x16x4f64 v[0+0:7+0], v[vgprValuB_X0_I0+0+0+0+2:vgprValuB_X0_I0+0+0+0+2+1], v[vgprG2LA+0+0+2:vgprG2LA+0+0+2+1], v[0:7]
 // Cr += Ai*Bi
/*  mfmaIndex:3  */
_ds_load_b128 v[vgprValuB_X1_I0+8:vgprValuB_X1_I0+8+3], v[vgprLocalReadAddrB] offset:4608 // L -> Reg lro=256 swapByteOffset=0 ti=16 vIdx=2 rIdx=0 oIdx=0 buffer=1 iui=0
_v_add_co_u32  v[vgprGlobalReadAddrA+2+0], vcc, v[vgprGlobalReadAddrA+2+0], v[vgprGlobalReadIncsA+0+0] // gra += incAL (lower)
_v_addc_co_u32 v[vgprGlobalReadAddrA+2+1], vcc, v[vgprGlobalReadAddrA+2+1], v[vgprGlobalReadIncsA+0+1], vcc // gra += incAL (upper)
_v_add_co_u32  v[vgprGlobalReadAddrA+4+0], vcc, v[vgprGlobalReadAddrA+4+0], v[vgprGlobalReadIncsA+0+0] // gra += incAL (lower)
v_mfma_f64_16x16x4f64 v[64+0:71+0], v[vgprValuB_X0_I0+0+0+0+2:vgprValuB_X0_I0+0+0+0+2+1], v[220:221], v[64:71]
 // Ci += -Ar*Bi
/*  mfmaIndex:4  */
_ds_load_b128 v[vgprValuB_X1_I0+12:vgprValuB_X1_I0+12+3], v[vgprLocalReadAddrB] offset:4864 // L -> Reg lro=256 swapByteOffset=0 ti=16 vIdx=3 rIdx=0 oIdx=0 buffer=1 iui=0
/* localReadsVacancy: latencyLeft 1 */
_v_addc_co_u32 v[vgprGlobalReadAddrA+4+1], vcc, v[vgprGlobalReadAddrA+4+1], v[vgprGlobalReadIncsA+0+1], vcc // gra += incAL (upper)
_v_add_co_u32  v[vgprGlobalReadAddrA+6+0], vcc, v[vgprGlobalReadAddrA+6+0], v[vgprGlobalReadIncsA+0+0] // gra += incAL (lower)
_v_addc_co_u32 v[vgprGlobalReadAddrA+6+1], vcc, v[vgprGlobalReadAddrA+6+1], v[vgprGlobalReadIncsA+0+1], vcc // gra += incAL (upper)
v_mfma_f64_16x16x4f64 v[16+0:23+0], v[vgprValuB_X0_I0+4+0+0:vgprValuB_X0_I0+4+0+0+1], v[vgprG2LA+0+0:vgprG2LA+0+0+1], v[16:23]
 // Cr += Ar*Br
/*  mfmaIndex:5  */
/* localReadsVacancy: latencyLeft 5 */
v_mfma_f64_16x16x4f64 v[80+0:87+0], v[vgprValuB_X0_I0+4+0+0:vgprValuB_X0_I0+4+0+0+1], v[vgprG2LA+0+0+2:vgprG2LA+0+0+2+1], v[80:87]
 // Ci += Ai*Br
/*  mfmaIndex:6  */
/* localReadsVacancy: latencyLeft 5 */
v_mfma_f64_16x16x4f64 v[16+0:23+0], v[vgprValuB_X0_I0+4+0+0+2:vgprValuB_X0_I0+4+0+0+2+1], v[vgprG2LA+0+0+2:vgprG2LA+0+0+2+1], v[16:23]
 // Cr += Ai*Bi
/*  mfmaIndex:7  */
/* localReadsVacancy: latencyLeft 5 */
v_mfma_f64_16x16x4f64 v[80+0:87+0], v[vgprValuB_X0_I0+4+0+0+2:vgprValuB_X0_I0+4+0+0+2+1], v[220:221], v[80:87]
 // Ci += -Ar*Bi
/*  mfmaIndex:8  */
/* localReadsVacancy: latencyLeft 5 */
v_mfma_f64_16x16x4f64 v[32+0:39+0], v[vgprValuB_X0_I0+8+0+0:vgprValuB_X0_I0+8+0+0+1], v[vgprG2LA+0+0:vgprG2LA+0+0+1], v[32:39]
 // Cr += Ar*Br
/*  mfmaIndex:9  */
/* localReadsVacancy: latencyLeft 5 */
v_mfma_f64_16x16x4f64 v[96+0:103+0], v[vgprValuB_X0_I0+8+0+0:vgprValuB_X0_I0+8+0+0+1], v[vgprG2LA+0+0+2:vgprG2LA+0+0+2+1], v[96:103]
 // Ci += Ai*Br
/*  mfmaIndex:10  */
/* localReadsVacancy: latencyLeft 5 */
v_mfma_f64_16x16x4f64 v[32+0:39+0], v[vgprValuB_X0_I0+8+0+0+2:vgprValuB_X0_I0+8+0+0+2+1], v[vgprG2LA+0+0+2:vgprG2LA+0+0+2+1], v[32:39]
 // Cr += Ai*Bi
/*  mfmaIndex:11  */
/* localReadsVacancy: latencyLeft 5 */
v_mfma_f64_16x16x4f64 v[96+0:103+0], v[vgprValuB_X0_I0+8+0+0+2:vgprValuB_X0_I0+8+0+0+2+1], v[220:221], v[96:103]
 // Ci += -Ar*Bi
/*  mfmaIndex:12  */
/* localReadsVacancy: latencyLeft 5 */
	;; [unrolled: 16-line block ×3, first 2 shown]
v_add_f64 v[220:221], -v[vgprG2LA+4+0:vgprG2LA+4+0+1], 0 // Ar=-Ar
v_mfma_f64_16x16x4f64 v[8+0:15+0], v[vgprValuB_X0_I0+0+0+0:vgprValuB_X0_I0+0+0+0+1], v[vgprG2LA+4+0:vgprG2LA+4+0+1], v[8:15]
 // Cr += Ar*Br
/*  mfmaIndex:17  */
/* localReadsVacancy: latencyLeft 5 */
v_mfma_f64_16x16x4f64 v[72+0:79+0], v[vgprValuB_X0_I0+0+0+0:vgprValuB_X0_I0+0+0+0+1], v[vgprG2LA+4+0+2:vgprG2LA+4+0+2+1], v[72:79]
 // Ci += Ai*Br
/*  mfmaIndex:18  */
/* localReadsVacancy: latencyLeft 5 */
v_mfma_f64_16x16x4f64 v[8+0:15+0], v[vgprValuB_X0_I0+0+0+0+2:vgprValuB_X0_I0+0+0+0+2+1], v[vgprG2LA+4+0+2:vgprG2LA+4+0+2+1], v[8:15]
 // Cr += Ai*Bi
/*  mfmaIndex:19  */
/* localReadsVacancy: latencyLeft 5 */
v_mfma_f64_16x16x4f64 v[72+0:79+0], v[vgprValuB_X0_I0+0+0+0+2:vgprValuB_X0_I0+0+0+0+2+1], v[220:221], v[72:79]
 // Ci += -Ar*Bi
/*  mfmaIndex:20  */
/* localReadsVacancy: latencyLeft 5 */
v_mfma_f64_16x16x4f64 v[24+0:31+0], v[vgprValuB_X0_I0+4+0+0:vgprValuB_X0_I0+4+0+0+1], v[vgprG2LA+4+0:vgprG2LA+4+0+1], v[24:31]
 // Cr += Ar*Br
/*  mfmaIndex:21  */
/* localReadsVacancy: latencyLeft 5 */
v_mfma_f64_16x16x4f64 v[88+0:95+0], v[vgprValuB_X0_I0+4+0+0:vgprValuB_X0_I0+4+0+0+1], v[vgprG2LA+4+0+2:vgprG2LA+4+0+2+1], v[88:95]
 // Ci += Ai*Br
/*  mfmaIndex:22  */
/* localReadsVacancy: latencyLeft 5 */
v_mfma_f64_16x16x4f64 v[24+0:31+0], v[vgprValuB_X0_I0+4+0+0+2:vgprValuB_X0_I0+4+0+0+2+1], v[vgprG2LA+4+0+2:vgprG2LA+4+0+2+1], v[24:31]
 // Cr += Ai*Bi
/*  mfmaIndex:23  */
/* localReadsVacancy: latencyLeft 5 */
v_mfma_f64_16x16x4f64 v[88+0:95+0], v[vgprValuB_X0_I0+4+0+0+2:vgprValuB_X0_I0+4+0+0+2+1], v[220:221], v[88:95]
 // Ci += -Ar*Bi
/*  mfmaIndex:24  */
/* sched write - iter 0 writesPerItem=1 */
s_waitcnt vmcnt(0)                                 // lgkmcnt=-1 vmcnt=0wait for global read before writing to local
_ds_store_b128 v[vgprLocalWriteAddrB], v[vgprG2LB+0:vgprG2LB+0+3] offset:0 // lwoB_0_0_0_0 = (0*LSCB) + (0*LSPB)(*MT1J+PAD) = 0
v_mfma_f64_16x16x4f64 v[40+0:47+0], v[vgprValuB_X0_I0+8+0+0:vgprValuB_X0_I0+8+0+0+1], v[vgprG2LA+4+0:vgprG2LA+4+0+1], v[40:47]
 // Cr += Ar*Br
/*  mfmaIndex:25  */
/* localReadsVacancy: latencyLeft 5 */
v_mfma_f64_16x16x4f64 v[104+0:111+0], v[vgprValuB_X0_I0+8+0+0:vgprValuB_X0_I0+8+0+0+1], v[vgprG2LA+4+0+2:vgprG2LA+4+0+2+1], v[104:111]
 // Ci += Ai*Br
/*  mfmaIndex:26  */
/* localReadsVacancy: latencyLeft 5 */
v_mfma_f64_16x16x4f64 v[40+0:47+0], v[vgprValuB_X0_I0+8+0+0+2:vgprValuB_X0_I0+8+0+0+2+1], v[vgprG2LA+4+0+2:vgprG2LA+4+0+2+1], v[40:47]
 // Cr += Ai*Bi
/*  mfmaIndex:27  */
/* localReadsVacancy: latencyLeft 5 */
v_mfma_f64_16x16x4f64 v[104+0:111+0], v[vgprValuB_X0_I0+8+0+0+2:vgprValuB_X0_I0+8+0+0+2+1], v[220:221], v[104:111]
 // Ci += -Ar*Bi
/*  mfmaIndex:28  */
/* localReadsVacancy: latencyLeft 5 */
v_mfma_f64_16x16x4f64 v[56+0:63+0], v[vgprValuB_X0_I0+12+0+0:vgprValuB_X0_I0+12+0+0+1], v[vgprG2LA+4+0:vgprG2LA+4+0+1], v[56:63]
 // Cr += Ar*Br
/*  mfmaIndex:29  */
/* localReadsVacancy: latencyLeft 5 */
v_mfma_f64_16x16x4f64 v[120+0:127+0], v[vgprValuB_X0_I0+12+0+0:vgprValuB_X0_I0+12+0+0+1], v[vgprG2LA+4+0+2:vgprG2LA+4+0+2+1], v[120:127]
 // Ci += Ai*Br
/*  mfmaIndex:30  */
/* sched write - iter 0 writesPerItem=1 */
s_waitcnt vmcnt(0)                                 // lgkmcnt=-1 vmcnt=0wait for global read before writing to local
_ds_store_b128 v[vgprLocalWriteAddrB], v[vgprG2LB+4:vgprG2LB+4+3] offset:4096 // lwoB_0_0_1_0 = (0*LSCB) + (1*LSPB)(*MT1J+PAD) = 4096
v_mfma_f64_16x16x4f64 v[56+0:63+0], v[vgprValuB_X0_I0+12+0+0+2:vgprValuB_X0_I0+12+0+0+2+1], v[vgprG2LA+4+0+2:vgprG2LA+4+0+2+1], v[56:63]
 // Cr += Ai*Bi
/*  mfmaIndex:31  */
/* localReadsVacancy: latencyLeft 5 */

/* local write swap offsets a */

/* (EPS=1) local write swap internal offset -> 8192 */

/* local write swap offsets b */

/* (EPS=1) local write swap internal offset -> 8192 */

/* local read swap offsets a */

/* local read swap offsets b */
v_xor_b32 v[vgprLocalReadAddrB], 0x2000, v[vgprLocalReadAddrB] // swap Red Blk

/* local read init pointers a */

/* local read init pointers b */

/* localReadInitPointers */
v_mfma_f64_16x16x4f64 v[120+0:127+0], v[vgprValuB_X0_I0+12+0+0+2:vgprValuB_X0_I0+12+0+0+2+1], v[220:221], v[120:127]
 // Ci += -Ar*Bi
/* numPrefetchIter=0 */
/* dataAtIterA=-1 numReadsIterA=1 skipReadsIterA=1 readsPerIterA=2 */
/* dataAtIterB=-1 numReadsIterB=1 skipReadsIterB=1 readsPerIterB=4 */


/* iter 1 */

/*  grEndMfmaIndex:4, lwStartMfmaIndex:24, lwEndMfmaIndex:31  */
/*  numMfmaForLR:10, barrierMfmaIndex:53, LocalWritePerMfma:0.165 */
/*  mfmaIndex:32  */
s_waitcnt lgkmcnt(2)                               // lgkmcnt=0 vmcnt=-1wait for prior local read local write old=0, new=2 newLW=2 newLR=0
v_add_f64 v[220:221], -v[vgprG2LA+8+0:vgprG2LA+8+0+1], 0 // Ar=-Ar
v_mfma_f64_16x16x4f64 v[0+0:7+0], v[vgprValuB_X1_I0+0+0+0:vgprValuB_X1_I0+0+0+0+1], v[vgprG2LA+8+0:vgprG2LA+8+0+1], v[0:7]
 // Cr += Ar*Br
/*  mfmaIndex:33  */
v_mfma_f64_16x16x4f64 v[64+0:71+0], v[vgprValuB_X1_I0+0+0+0:vgprValuB_X1_I0+0+0+0+1], v[vgprG2LA+8+0+2:vgprG2LA+8+0+2+1], v[64:71]
 // Ci += Ai*Br
/*  mfmaIndex:34  */
v_mfma_f64_16x16x4f64 v[0+0:7+0], v[vgprValuB_X1_I0+0+0+0+2:vgprValuB_X1_I0+0+0+0+2+1], v[vgprG2LA+8+0+2:vgprG2LA+8+0+2+1], v[0:7]
 // Cr += Ai*Bi
/*  mfmaIndex:35  */
v_mfma_f64_16x16x4f64 v[64+0:71+0], v[vgprValuB_X1_I0+0+0+0+2:vgprValuB_X1_I0+0+0+0+2+1], v[220:221], v[64:71]
 // Ci += -Ar*Bi
/*  mfmaIndex:36  */
v_mfma_f64_16x16x4f64 v[16+0:23+0], v[vgprValuB_X1_I0+4+0+0:vgprValuB_X1_I0+4+0+0+1], v[vgprG2LA+8+0:vgprG2LA+8+0+1], v[16:23]
 // Cr += Ar*Br
/*  mfmaIndex:37  */
v_mfma_f64_16x16x4f64 v[80+0:87+0], v[vgprValuB_X1_I0+4+0+0:vgprValuB_X1_I0+4+0+0+1], v[vgprG2LA+8+0+2:vgprG2LA+8+0+2+1], v[80:87]
 // Ci += Ai*Br
/*  mfmaIndex:38  */
v_mfma_f64_16x16x4f64 v[16+0:23+0], v[vgprValuB_X1_I0+4+0+0+2:vgprValuB_X1_I0+4+0+0+2+1], v[vgprG2LA+8+0+2:vgprG2LA+8+0+2+1], v[16:23]
 // Cr += Ai*Bi
/*  mfmaIndex:39  */
v_mfma_f64_16x16x4f64 v[80+0:87+0], v[vgprValuB_X1_I0+4+0+0+2:vgprValuB_X1_I0+4+0+0+2+1], v[220:221], v[80:87]
 // Ci += -Ar*Bi
/*  mfmaIndex:40  */
	;; [unrolled: 12-line block ×4, first 2 shown]
v_add_f64 v[220:221], -v[vgprG2LA+12+0:vgprG2LA+12+0+1], 0 // Ar=-Ar
v_mfma_f64_16x16x4f64 v[8+0:15+0], v[vgprValuB_X1_I0+0+0+0:vgprValuB_X1_I0+0+0+0+1], v[vgprG2LA+12+0:vgprG2LA+12+0+1], v[8:15]
 // Cr += Ar*Br
/*  mfmaIndex:49  */
v_mfma_f64_16x16x4f64 v[72+0:79+0], v[vgprValuB_X1_I0+0+0+0:vgprValuB_X1_I0+0+0+0+1], v[vgprG2LA+12+0+2:vgprG2LA+12+0+2+1], v[72:79]
 // Ci += Ai*Br
/*  mfmaIndex:50  */
v_mfma_f64_16x16x4f64 v[8+0:15+0], v[vgprValuB_X1_I0+0+0+0+2:vgprValuB_X1_I0+0+0+0+2+1], v[vgprG2LA+12+0+2:vgprG2LA+12+0+2+1], v[8:15]
 // Cr += Ai*Bi
/*  mfmaIndex:51  */
v_mfma_f64_16x16x4f64 v[72+0:79+0], v[vgprValuB_X1_I0+0+0+0+2:vgprValuB_X1_I0+0+0+0+2+1], v[220:221], v[72:79]
 // Ci += -Ar*Bi
/*  mfmaIndex:52  */
v_mfma_f64_16x16x4f64 v[24+0:31+0], v[vgprValuB_X1_I0+4+0+0:vgprValuB_X1_I0+4+0+0+1], v[vgprG2LA+12+0:vgprG2LA+12+0+1], v[24:31]
 // Cr += Ar*Br
/*  mfmaIndex:53  */
s_waitcnt lgkmcnt(0)                               // lgkmcnt=0 vmcnt=-13wait for local write
// Skip force waitcnt0
s_barrier //
v_mfma_f64_16x16x4f64 v[88+0:95+0], v[vgprValuB_X1_I0+4+0+0:vgprValuB_X1_I0+4+0+0+1], v[vgprG2LA+12+0+2:vgprG2LA+12+0+2+1], v[88:95]
 // Ci += Ai*Br
/*  mfmaIndex:54  */
_ds_load_b128 v[vgprValuB_X0_I0+0:vgprValuB_X0_I0+0+3], v[vgprLocalReadAddrB] offset:0 // L -> Reg lro=0 swapByteOffset=0 ti=16 vIdx=0 rIdx=0 oIdx=0 buffer=0 iui=0
v_mfma_f64_16x16x4f64 v[24+0:31+0], v[vgprValuB_X1_I0+4+0+0+2:vgprValuB_X1_I0+4+0+0+2+1], v[vgprG2LA+12+0+2:vgprG2LA+12+0+2+1], v[24:31]
 // Cr += Ai*Bi
/*  mfmaIndex:55  */
_ds_load_b128 v[vgprValuB_X0_I0+4:vgprValuB_X0_I0+4+3], v[vgprLocalReadAddrB] offset:256 // L -> Reg lro=0 swapByteOffset=0 ti=16 vIdx=1 rIdx=0 oIdx=0 buffer=0 iui=0
v_mfma_f64_16x16x4f64 v[88+0:95+0], v[vgprValuB_X1_I0+4+0+0+2:vgprValuB_X1_I0+4+0+0+2+1], v[220:221], v[88:95]
 // Ci += -Ar*Bi
/*  mfmaIndex:56  */
_ds_load_b128 v[vgprValuB_X0_I0+8:vgprValuB_X0_I0+8+3], v[vgprLocalReadAddrB] offset:512 // L -> Reg lro=0 swapByteOffset=0 ti=16 vIdx=2 rIdx=0 oIdx=0 buffer=0 iui=0
v_mfma_f64_16x16x4f64 v[40+0:47+0], v[vgprValuB_X1_I0+8+0+0:vgprValuB_X1_I0+8+0+0+1], v[vgprG2LA+12+0:vgprG2LA+12+0+1], v[40:47]
 // Cr += Ar*Br
/*  mfmaIndex:57  */
_ds_load_b128 v[vgprValuB_X0_I0+12:vgprValuB_X0_I0+12+3], v[vgprLocalReadAddrB] offset:768 // L -> Reg lro=0 swapByteOffset=0 ti=16 vIdx=3 rIdx=0 oIdx=0 buffer=0 iui=0
v_mfma_f64_16x16x4f64 v[104+0:111+0], v[vgprValuB_X1_I0+8+0+0:vgprValuB_X1_I0+8+0+0+1], v[vgprG2LA+12+0+2:vgprG2LA+12+0+2+1], v[104:111]
 // Ci += Ai*Br
/*  mfmaIndex:58  */
v_mfma_f64_16x16x4f64 v[40+0:47+0], v[vgprValuB_X1_I0+8+0+0+2:vgprValuB_X1_I0+8+0+0+2+1], v[vgprG2LA+12+0+2:vgprG2LA+12+0+2+1], v[40:47]
 // Cr += Ai*Bi
/*  mfmaIndex:59  */
v_mfma_f64_16x16x4f64 v[104+0:111+0], v[vgprValuB_X1_I0+8+0+0+2:vgprValuB_X1_I0+8+0+0+2+1], v[220:221], v[104:111]
 // Ci += -Ar*Bi
/*  mfmaIndex:60  */
v_mfma_f64_16x16x4f64 v[56+0:63+0], v[vgprValuB_X1_I0+12+0+0:vgprValuB_X1_I0+12+0+0+1], v[vgprG2LA+12+0:vgprG2LA+12+0+1], v[56:63]
 // Cr += Ar*Br
/*  mfmaIndex:61  */
v_mfma_f64_16x16x4f64 v[120+0:127+0], v[vgprValuB_X1_I0+12+0+0:vgprValuB_X1_I0+12+0+0+1], v[vgprG2LA+12+0+2:vgprG2LA+12+0+2+1], v[120:127]
 // Ci += Ai*Br
/*  mfmaIndex:62  */
v_mfma_f64_16x16x4f64 v[56+0:63+0], v[vgprValuB_X1_I0+12+0+0+2:vgprValuB_X1_I0+12+0+0+2+1], v[vgprG2LA+12+0+2:vgprG2LA+12+0+2+1], v[56:63]
 // Cr += Ai*Bi
/*  mfmaIndex:63  */
v_mfma_f64_16x16x4f64 v[120+0:127+0], v[vgprValuB_X1_I0+12+0+0+2:vgprValuB_X1_I0+12+0+0+2+1], v[220:221], v[120:127]
 // Ci += -Ar*Bi
/* numPrefetchIter=1 */
/* dataAtIterA=0 numReadsIterA=1 skipReadsIterA=1 readsPerIterA=2 */
/* dataAtIterB=0 numReadsIterB=1 skipReadsIterB=1 readsPerIterB=4 */

label_0018: // EvenEndNoGlobalLoadLoopOrd 

label_0014:


/******************************************/
/* Ord. NoLoadLoop - Begin                                      */
/******************************************/


s_and_b32 s0, s[sgprOrigLoopCounter], 1            // test if OrigLoopCounter is Odd ?
s_cbranch_scc0 label_0019                          // Skip odd code if OrigLoopCounter is Even



/* iter 0 (last unrolled loop) */

s_waitcnt vmcnt(2)                                 // lgkmcnt=-1 vmcnt=2global read wait for DirectToVgpr

/*  grEndMfmaIndex:0, lwStartMfmaIndex:31, lwEndMfmaIndex:31  */
/*  numMfmaForLR:10, barrierMfmaIndex:53, LocalWritePerMfma:0.165 */
/*  mfmaIndex:0  */
s_waitcnt lgkmcnt(0)                               // lgkmcnt=0 vmcnt=-1wait for prior local read local write old=0, new=0 newLW=0 newLR=0
v_add_f64 v[220:221], -v[vgprG2LA+0+0:vgprG2LA+0+0+1], 0 // Ar=-Ar
v_mfma_f64_16x16x4f64 v[0+0:7+0], v[vgprValuB_X0_I0+0+0+0:vgprValuB_X0_I0+0+0+0+1], v[vgprG2LA+0+0:vgprG2LA+0+0+1], v[0:7]
 // Cr += Ar*Br
/*  mfmaIndex:1  */
_ds_load_b128 v[vgprValuB_X1_I0+0:vgprValuB_X1_I0+0+3], v[vgprLocalReadAddrB] offset:4096 // L -> Reg lro=256 swapByteOffset=0 ti=16 vIdx=0 rIdx=0 oIdx=0 buffer=1 iui=0
v_mfma_f64_16x16x4f64 v[64+0:71+0], v[vgprValuB_X0_I0+0+0+0:vgprValuB_X0_I0+0+0+0+1], v[vgprG2LA+0+0+2:vgprG2LA+0+0+2+1], v[64:71]
 // Ci += Ai*Br
/*  mfmaIndex:2  */
_ds_load_b128 v[vgprValuB_X1_I0+4:vgprValuB_X1_I0+4+3], v[vgprLocalReadAddrB] offset:4352 // L -> Reg lro=256 swapByteOffset=0 ti=16 vIdx=1 rIdx=0 oIdx=0 buffer=1 iui=0
v_mfma_f64_16x16x4f64 v[0+0:7+0], v[vgprValuB_X0_I0+0+0+0+2:vgprValuB_X0_I0+0+0+0+2+1], v[vgprG2LA+0+0+2:vgprG2LA+0+0+2+1], v[0:7]
 // Cr += Ai*Bi
/*  mfmaIndex:3  */
_ds_load_b128 v[vgprValuB_X1_I0+8:vgprValuB_X1_I0+8+3], v[vgprLocalReadAddrB] offset:4608 // L -> Reg lro=256 swapByteOffset=0 ti=16 vIdx=2 rIdx=0 oIdx=0 buffer=1 iui=0
v_mfma_f64_16x16x4f64 v[64+0:71+0], v[vgprValuB_X0_I0+0+0+0+2:vgprValuB_X0_I0+0+0+0+2+1], v[220:221], v[64:71]
 // Ci += -Ar*Bi
/*  mfmaIndex:4  */
_ds_load_b128 v[vgprValuB_X1_I0+12:vgprValuB_X1_I0+12+3], v[vgprLocalReadAddrB] offset:4864 // L -> Reg lro=256 swapByteOffset=0 ti=16 vIdx=3 rIdx=0 oIdx=0 buffer=1 iui=0
/* localReadsVacancy: latencyLeft 1 */
v_mfma_f64_16x16x4f64 v[16+0:23+0], v[vgprValuB_X0_I0+4+0+0:vgprValuB_X0_I0+4+0+0+1], v[vgprG2LA+0+0:vgprG2LA+0+0+1], v[16:23]
 // Cr += Ar*Br
/*  mfmaIndex:5  */
/* localReadsVacancy: latencyLeft 5 */
v_mfma_f64_16x16x4f64 v[80+0:87+0], v[vgprValuB_X0_I0+4+0+0:vgprValuB_X0_I0+4+0+0+1], v[vgprG2LA+0+0+2:vgprG2LA+0+0+2+1], v[80:87]
 // Ci += Ai*Br
/*  mfmaIndex:6  */
/* localReadsVacancy: latencyLeft 5 */
v_mfma_f64_16x16x4f64 v[16+0:23+0], v[vgprValuB_X0_I0+4+0+0+2:vgprValuB_X0_I0+4+0+0+2+1], v[vgprG2LA+0+0+2:vgprG2LA+0+0+2+1], v[16:23]
 // Cr += Ai*Bi
/*  mfmaIndex:7  */
/* localReadsVacancy: latencyLeft 5 */
v_mfma_f64_16x16x4f64 v[80+0:87+0], v[vgprValuB_X0_I0+4+0+0+2:vgprValuB_X0_I0+4+0+0+2+1], v[220:221], v[80:87]
 // Ci += -Ar*Bi
/*  mfmaIndex:8  */
/* localReadsVacancy: latencyLeft 5 */
v_mfma_f64_16x16x4f64 v[32+0:39+0], v[vgprValuB_X0_I0+8+0+0:vgprValuB_X0_I0+8+0+0+1], v[vgprG2LA+0+0:vgprG2LA+0+0+1], v[32:39]
 // Cr += Ar*Br
/*  mfmaIndex:9  */
/* localReadsVacancy: latencyLeft 5 */
v_mfma_f64_16x16x4f64 v[96+0:103+0], v[vgprValuB_X0_I0+8+0+0:vgprValuB_X0_I0+8+0+0+1], v[vgprG2LA+0+0+2:vgprG2LA+0+0+2+1], v[96:103]
 // Ci += Ai*Br
/*  mfmaIndex:10  */
/* localReadsVacancy: latencyLeft 5 */
v_mfma_f64_16x16x4f64 v[32+0:39+0], v[vgprValuB_X0_I0+8+0+0+2:vgprValuB_X0_I0+8+0+0+2+1], v[vgprG2LA+0+0+2:vgprG2LA+0+0+2+1], v[32:39]
 // Cr += Ai*Bi
/*  mfmaIndex:11  */
/* localReadsVacancy: latencyLeft 5 */
v_mfma_f64_16x16x4f64 v[96+0:103+0], v[vgprValuB_X0_I0+8+0+0+2:vgprValuB_X0_I0+8+0+0+2+1], v[220:221], v[96:103]
 // Ci += -Ar*Bi
/*  mfmaIndex:12  */
	;; [unrolled: 16-line block ×3, first 2 shown]
/* localReadsVacancy: latencyLeft 5 */
v_add_f64 v[220:221], -v[vgprG2LA+4+0:vgprG2LA+4+0+1], 0 // Ar=-Ar
v_mfma_f64_16x16x4f64 v[8+0:15+0], v[vgprValuB_X0_I0+0+0+0:vgprValuB_X0_I0+0+0+0+1], v[vgprG2LA+4+0:vgprG2LA+4+0+1], v[8:15]
 // Cr += Ar*Br
/*  mfmaIndex:17  */
/* localReadsVacancy: latencyLeft 5 */
v_mfma_f64_16x16x4f64 v[72+0:79+0], v[vgprValuB_X0_I0+0+0+0:vgprValuB_X0_I0+0+0+0+1], v[vgprG2LA+4+0+2:vgprG2LA+4+0+2+1], v[72:79]
 // Ci += Ai*Br
/*  mfmaIndex:18  */
/* localReadsVacancy: latencyLeft 5 */
v_mfma_f64_16x16x4f64 v[8+0:15+0], v[vgprValuB_X0_I0+0+0+0+2:vgprValuB_X0_I0+0+0+0+2+1], v[vgprG2LA+4+0+2:vgprG2LA+4+0+2+1], v[8:15]
 // Cr += Ai*Bi
/*  mfmaIndex:19  */
/* localReadsVacancy: latencyLeft 5 */
v_mfma_f64_16x16x4f64 v[72+0:79+0], v[vgprValuB_X0_I0+0+0+0+2:vgprValuB_X0_I0+0+0+0+2+1], v[220:221], v[72:79]
 // Ci += -Ar*Bi
/*  mfmaIndex:20  */
/* localReadsVacancy: latencyLeft 5 */
v_mfma_f64_16x16x4f64 v[24+0:31+0], v[vgprValuB_X0_I0+4+0+0:vgprValuB_X0_I0+4+0+0+1], v[vgprG2LA+4+0:vgprG2LA+4+0+1], v[24:31]
 // Cr += Ar*Br
/*  mfmaIndex:21  */
/* localReadsVacancy: latencyLeft 5 */
v_mfma_f64_16x16x4f64 v[88+0:95+0], v[vgprValuB_X0_I0+4+0+0:vgprValuB_X0_I0+4+0+0+1], v[vgprG2LA+4+0+2:vgprG2LA+4+0+2+1], v[88:95]
 // Ci += Ai*Br
/*  mfmaIndex:22  */
/* localReadsVacancy: latencyLeft 5 */
v_mfma_f64_16x16x4f64 v[24+0:31+0], v[vgprValuB_X0_I0+4+0+0+2:vgprValuB_X0_I0+4+0+0+2+1], v[vgprG2LA+4+0+2:vgprG2LA+4+0+2+1], v[24:31]
 // Cr += Ai*Bi
/*  mfmaIndex:23  */
/* localReadsVacancy: latencyLeft 5 */
v_mfma_f64_16x16x4f64 v[88+0:95+0], v[vgprValuB_X0_I0+4+0+0+2:vgprValuB_X0_I0+4+0+0+2+1], v[220:221], v[88:95]
 // Ci += -Ar*Bi
/*  mfmaIndex:24  */
/* localReadsVacancy: latencyLeft 5 */
	;; [unrolled: 16-line block ×3, first 2 shown]
v_mfma_f64_16x16x4f64 v[56+0:63+0], v[vgprValuB_X0_I0+12+0+0:vgprValuB_X0_I0+12+0+0+1], v[vgprG2LA+4+0:vgprG2LA+4+0+1], v[56:63]
 // Cr += Ar*Br
/*  mfmaIndex:29  */
/* localReadsVacancy: latencyLeft 5 */
v_mfma_f64_16x16x4f64 v[120+0:127+0], v[vgprValuB_X0_I0+12+0+0:vgprValuB_X0_I0+12+0+0+1], v[vgprG2LA+4+0+2:vgprG2LA+4+0+2+1], v[120:127]
 // Ci += Ai*Br
/*  mfmaIndex:30  */
/* localReadsVacancy: latencyLeft 5 */
v_mfma_f64_16x16x4f64 v[56+0:63+0], v[vgprValuB_X0_I0+12+0+0+2:vgprValuB_X0_I0+12+0+0+2+1], v[vgprG2LA+4+0+2:vgprG2LA+4+0+2+1], v[56:63]
 // Cr += Ai*Bi
/*  mfmaIndex:31  */
/* localReadsVacancy: latencyLeft 5 */
v_mfma_f64_16x16x4f64 v[120+0:127+0], v[vgprValuB_X0_I0+12+0+0+2:vgprValuB_X0_I0+12+0+0+2+1], v[220:221], v[120:127]
 // Ci += -Ar*Bi
/* numPrefetchIter=0 */
/* dataAtIterA=-1 numReadsIterA=1 skipReadsIterA=1 readsPerIterA=2 */
/* dataAtIterB=-1 numReadsIterB=1 skipReadsIterB=1 readsPerIterB=4 */


/* iter 1 (last unrolled loop) */

s_waitcnt vmcnt(0)                                 // lgkmcnt=-1 vmcnt=0global read wait for DirectToVgpr

/*  grEndMfmaIndex:0, lwStartMfmaIndex:31, lwEndMfmaIndex:31  */
/*  numMfmaForLR:10, barrierMfmaIndex:53, LocalWritePerMfma:0.165 */
/*  mfmaIndex:32  */
s_waitcnt lgkmcnt(0)                               // lgkmcnt=0 vmcnt=-1wait for prior local read local write old=0, new=0 newLW=0 newLR=0
v_add_f64 v[220:221], -v[vgprG2LA+8+0:vgprG2LA+8+0+1], 0 // Ar=-Ar
v_mfma_f64_16x16x4f64 v[0+0:7+0], v[vgprValuB_X1_I0+0+0+0:vgprValuB_X1_I0+0+0+0+1], v[vgprG2LA+8+0:vgprG2LA+8+0+1], v[0:7]
 // Cr += Ar*Br
/*  mfmaIndex:33  */
v_mfma_f64_16x16x4f64 v[64+0:71+0], v[vgprValuB_X1_I0+0+0+0:vgprValuB_X1_I0+0+0+0+1], v[vgprG2LA+8+0+2:vgprG2LA+8+0+2+1], v[64:71]
 // Ci += Ai*Br
/*  mfmaIndex:34  */
v_mfma_f64_16x16x4f64 v[0+0:7+0], v[vgprValuB_X1_I0+0+0+0+2:vgprValuB_X1_I0+0+0+0+2+1], v[vgprG2LA+8+0+2:vgprG2LA+8+0+2+1], v[0:7]
 // Cr += Ai*Bi
/*  mfmaIndex:35  */
v_mfma_f64_16x16x4f64 v[64+0:71+0], v[vgprValuB_X1_I0+0+0+0+2:vgprValuB_X1_I0+0+0+0+2+1], v[220:221], v[64:71]
 // Ci += -Ar*Bi
/*  mfmaIndex:36  */
v_mfma_f64_16x16x4f64 v[16+0:23+0], v[vgprValuB_X1_I0+4+0+0:vgprValuB_X1_I0+4+0+0+1], v[vgprG2LA+8+0:vgprG2LA+8+0+1], v[16:23]
 // Cr += Ar*Br
/*  mfmaIndex:37  */
v_mfma_f64_16x16x4f64 v[80+0:87+0], v[vgprValuB_X1_I0+4+0+0:vgprValuB_X1_I0+4+0+0+1], v[vgprG2LA+8+0+2:vgprG2LA+8+0+2+1], v[80:87]
 // Ci += Ai*Br
/*  mfmaIndex:38  */
v_mfma_f64_16x16x4f64 v[16+0:23+0], v[vgprValuB_X1_I0+4+0+0+2:vgprValuB_X1_I0+4+0+0+2+1], v[vgprG2LA+8+0+2:vgprG2LA+8+0+2+1], v[16:23]
 // Cr += Ai*Bi
/*  mfmaIndex:39  */
v_mfma_f64_16x16x4f64 v[80+0:87+0], v[vgprValuB_X1_I0+4+0+0+2:vgprValuB_X1_I0+4+0+0+2+1], v[220:221], v[80:87]
 // Ci += -Ar*Bi
/*  mfmaIndex:40  */
	;; [unrolled: 12-line block ×4, first 2 shown]
v_add_f64 v[220:221], -v[vgprG2LA+12+0:vgprG2LA+12+0+1], 0 // Ar=-Ar
v_mfma_f64_16x16x4f64 v[8+0:15+0], v[vgprValuB_X1_I0+0+0+0:vgprValuB_X1_I0+0+0+0+1], v[vgprG2LA+12+0:vgprG2LA+12+0+1], v[8:15]
 // Cr += Ar*Br
/*  mfmaIndex:49  */
v_mfma_f64_16x16x4f64 v[72+0:79+0], v[vgprValuB_X1_I0+0+0+0:vgprValuB_X1_I0+0+0+0+1], v[vgprG2LA+12+0+2:vgprG2LA+12+0+2+1], v[72:79]
 // Ci += Ai*Br
/*  mfmaIndex:50  */
v_mfma_f64_16x16x4f64 v[8+0:15+0], v[vgprValuB_X1_I0+0+0+0+2:vgprValuB_X1_I0+0+0+0+2+1], v[vgprG2LA+12+0+2:vgprG2LA+12+0+2+1], v[8:15]
 // Cr += Ai*Bi
/*  mfmaIndex:51  */
v_mfma_f64_16x16x4f64 v[72+0:79+0], v[vgprValuB_X1_I0+0+0+0+2:vgprValuB_X1_I0+0+0+0+2+1], v[220:221], v[72:79]
 // Ci += -Ar*Bi
/*  mfmaIndex:52  */
v_mfma_f64_16x16x4f64 v[24+0:31+0], v[vgprValuB_X1_I0+4+0+0:vgprValuB_X1_I0+4+0+0+1], v[vgprG2LA+12+0:vgprG2LA+12+0+1], v[24:31]
 // Cr += Ar*Br
/*  mfmaIndex:53  */
v_mfma_f64_16x16x4f64 v[88+0:95+0], v[vgprValuB_X1_I0+4+0+0:vgprValuB_X1_I0+4+0+0+1], v[vgprG2LA+12+0+2:vgprG2LA+12+0+2+1], v[88:95]
 // Ci += Ai*Br
/*  mfmaIndex:54  */
v_mfma_f64_16x16x4f64 v[24+0:31+0], v[vgprValuB_X1_I0+4+0+0+2:vgprValuB_X1_I0+4+0+0+2+1], v[vgprG2LA+12+0+2:vgprG2LA+12+0+2+1], v[24:31]
 // Cr += Ai*Bi
/*  mfmaIndex:55  */
v_mfma_f64_16x16x4f64 v[88+0:95+0], v[vgprValuB_X1_I0+4+0+0+2:vgprValuB_X1_I0+4+0+0+2+1], v[220:221], v[88:95]
 // Ci += -Ar*Bi
/*  mfmaIndex:56  */
	;; [unrolled: 12-line block ×3, first 2 shown]
v_mfma_f64_16x16x4f64 v[56+0:63+0], v[vgprValuB_X1_I0+12+0+0:vgprValuB_X1_I0+12+0+0+1], v[vgprG2LA+12+0:vgprG2LA+12+0+1], v[56:63]
 // Cr += Ar*Br
/*  mfmaIndex:61  */
v_mfma_f64_16x16x4f64 v[120+0:127+0], v[vgprValuB_X1_I0+12+0+0:vgprValuB_X1_I0+12+0+0+1], v[vgprG2LA+12+0+2:vgprG2LA+12+0+2+1], v[120:127]
 // Ci += Ai*Br
/*  mfmaIndex:62  */
v_mfma_f64_16x16x4f64 v[56+0:63+0], v[vgprValuB_X1_I0+12+0+0+2:vgprValuB_X1_I0+12+0+0+2+1], v[vgprG2LA+12+0+2:vgprG2LA+12+0+2+1], v[56:63]
 // Cr += Ai*Bi
/*  mfmaIndex:63  */
v_mfma_f64_16x16x4f64 v[120+0:127+0], v[vgprValuB_X1_I0+12+0+0+2:vgprValuB_X1_I0+12+0+0+2+1], v[220:221], v[120:127]
 // Ci += -Ar*Bi
/* numPrefetchIter=0 */
/* dataAtIterA=0 numReadsIterA=1 skipReadsIterA=0 readsPerIterA=2 */
/* dataAtIterB=0 numReadsIterB=1 skipReadsIterB=0 readsPerIterB=4 */

s_branch label_0020                                // Skip even code
label_0019: // EvenStartNoLoadLoopOrd 


	;; [unrolled: 1-line block ×3, first 2 shown]
/* iter 0 (last unrolled loop) */

s_waitcnt vmcnt(2)                                 // lgkmcnt=-1 vmcnt=2global read wait for DirectToVgpr

/*  grEndMfmaIndex:0, lwStartMfmaIndex:31, lwEndMfmaIndex:31  */
/*  numMfmaForLR:10, barrierMfmaIndex:53, LocalWritePerMfma:0.165 */
/*  mfmaIndex:0  */
s_waitcnt lgkmcnt(0)                               // lgkmcnt=0 vmcnt=-1wait for prior local read local write old=0, new=0 newLW=0 newLR=0
v_add_f64 v[220:221], -v[vgprG2LA+16+0:vgprG2LA+16+0+1], 0 // Ar=-Ar
v_mfma_f64_16x16x4f64 v[0+0:7+0], v[vgprValuB_X0_I0+0+0+0:vgprValuB_X0_I0+0+0+0+1], v[vgprG2LA+16+0:vgprG2LA+16+0+1], v[0:7]
 // Cr += Ar*Br
/*  mfmaIndex:1  */
_ds_load_b128 v[vgprValuB_X1_I0+0:vgprValuB_X1_I0+0+3], v[vgprLocalReadAddrB] offset:4096 // L -> Reg lro=256 swapByteOffset=0 ti=16 vIdx=0 rIdx=0 oIdx=0 buffer=1 iui=0
v_mfma_f64_16x16x4f64 v[64+0:71+0], v[vgprValuB_X0_I0+0+0+0:vgprValuB_X0_I0+0+0+0+1], v[vgprG2LA+16+0+2:vgprG2LA+16+0+2+1], v[64:71]
 // Ci += Ai*Br
/*  mfmaIndex:2  */
_ds_load_b128 v[vgprValuB_X1_I0+4:vgprValuB_X1_I0+4+3], v[vgprLocalReadAddrB] offset:4352 // L -> Reg lro=256 swapByteOffset=0 ti=16 vIdx=1 rIdx=0 oIdx=0 buffer=1 iui=0
v_mfma_f64_16x16x4f64 v[0+0:7+0], v[vgprValuB_X0_I0+0+0+0+2:vgprValuB_X0_I0+0+0+0+2+1], v[vgprG2LA+16+0+2:vgprG2LA+16+0+2+1], v[0:7]
 // Cr += Ai*Bi
/*  mfmaIndex:3  */
_ds_load_b128 v[vgprValuB_X1_I0+8:vgprValuB_X1_I0+8+3], v[vgprLocalReadAddrB] offset:4608 // L -> Reg lro=256 swapByteOffset=0 ti=16 vIdx=2 rIdx=0 oIdx=0 buffer=1 iui=0
v_mfma_f64_16x16x4f64 v[64+0:71+0], v[vgprValuB_X0_I0+0+0+0+2:vgprValuB_X0_I0+0+0+0+2+1], v[220:221], v[64:71]
 // Ci += -Ar*Bi
/*  mfmaIndex:4  */
_ds_load_b128 v[vgprValuB_X1_I0+12:vgprValuB_X1_I0+12+3], v[vgprLocalReadAddrB] offset:4864 // L -> Reg lro=256 swapByteOffset=0 ti=16 vIdx=3 rIdx=0 oIdx=0 buffer=1 iui=0
/* localReadsVacancy: latencyLeft 1 */
v_mfma_f64_16x16x4f64 v[16+0:23+0], v[vgprValuB_X0_I0+4+0+0:vgprValuB_X0_I0+4+0+0+1], v[vgprG2LA+16+0:vgprG2LA+16+0+1], v[16:23]
 // Cr += Ar*Br
/*  mfmaIndex:5  */
/* localReadsVacancy: latencyLeft 5 */
v_mfma_f64_16x16x4f64 v[80+0:87+0], v[vgprValuB_X0_I0+4+0+0:vgprValuB_X0_I0+4+0+0+1], v[vgprG2LA+16+0+2:vgprG2LA+16+0+2+1], v[80:87]
 // Ci += Ai*Br
/*  mfmaIndex:6  */
/* localReadsVacancy: latencyLeft 5 */
v_mfma_f64_16x16x4f64 v[16+0:23+0], v[vgprValuB_X0_I0+4+0+0+2:vgprValuB_X0_I0+4+0+0+2+1], v[vgprG2LA+16+0+2:vgprG2LA+16+0+2+1], v[16:23]
 // Cr += Ai*Bi
/*  mfmaIndex:7  */
/* localReadsVacancy: latencyLeft 5 */
v_mfma_f64_16x16x4f64 v[80+0:87+0], v[vgprValuB_X0_I0+4+0+0+2:vgprValuB_X0_I0+4+0+0+2+1], v[220:221], v[80:87]
 // Ci += -Ar*Bi
/*  mfmaIndex:8  */
/* localReadsVacancy: latencyLeft 5 */
v_mfma_f64_16x16x4f64 v[32+0:39+0], v[vgprValuB_X0_I0+8+0+0:vgprValuB_X0_I0+8+0+0+1], v[vgprG2LA+16+0:vgprG2LA+16+0+1], v[32:39]
 // Cr += Ar*Br
/*  mfmaIndex:9  */
/* localReadsVacancy: latencyLeft 5 */
v_mfma_f64_16x16x4f64 v[96+0:103+0], v[vgprValuB_X0_I0+8+0+0:vgprValuB_X0_I0+8+0+0+1], v[vgprG2LA+16+0+2:vgprG2LA+16+0+2+1], v[96:103]
 // Ci += Ai*Br
/*  mfmaIndex:10  */
/* localReadsVacancy: latencyLeft 5 */
v_mfma_f64_16x16x4f64 v[32+0:39+0], v[vgprValuB_X0_I0+8+0+0+2:vgprValuB_X0_I0+8+0+0+2+1], v[vgprG2LA+16+0+2:vgprG2LA+16+0+2+1], v[32:39]
 // Cr += Ai*Bi
/*  mfmaIndex:11  */
/* localReadsVacancy: latencyLeft 5 */
v_mfma_f64_16x16x4f64 v[96+0:103+0], v[vgprValuB_X0_I0+8+0+0+2:vgprValuB_X0_I0+8+0+0+2+1], v[220:221], v[96:103]
 // Ci += -Ar*Bi
/*  mfmaIndex:12  */
	;; [unrolled: 16-line block ×3, first 2 shown]
/* localReadsVacancy: latencyLeft 5 */
v_add_f64 v[220:221], -v[vgprG2LA+20+0:vgprG2LA+20+0+1], 0 // Ar=-Ar
v_mfma_f64_16x16x4f64 v[8+0:15+0], v[vgprValuB_X0_I0+0+0+0:vgprValuB_X0_I0+0+0+0+1], v[vgprG2LA+20+0:vgprG2LA+20+0+1], v[8:15]
 // Cr += Ar*Br
/*  mfmaIndex:17  */
/* localReadsVacancy: latencyLeft 5 */
v_mfma_f64_16x16x4f64 v[72+0:79+0], v[vgprValuB_X0_I0+0+0+0:vgprValuB_X0_I0+0+0+0+1], v[vgprG2LA+20+0+2:vgprG2LA+20+0+2+1], v[72:79]
 // Ci += Ai*Br
/*  mfmaIndex:18  */
/* localReadsVacancy: latencyLeft 5 */
v_mfma_f64_16x16x4f64 v[8+0:15+0], v[vgprValuB_X0_I0+0+0+0+2:vgprValuB_X0_I0+0+0+0+2+1], v[vgprG2LA+20+0+2:vgprG2LA+20+0+2+1], v[8:15]
 // Cr += Ai*Bi
/*  mfmaIndex:19  */
/* localReadsVacancy: latencyLeft 5 */
v_mfma_f64_16x16x4f64 v[72+0:79+0], v[vgprValuB_X0_I0+0+0+0+2:vgprValuB_X0_I0+0+0+0+2+1], v[220:221], v[72:79]
 // Ci += -Ar*Bi
/*  mfmaIndex:20  */
/* localReadsVacancy: latencyLeft 5 */
v_mfma_f64_16x16x4f64 v[24+0:31+0], v[vgprValuB_X0_I0+4+0+0:vgprValuB_X0_I0+4+0+0+1], v[vgprG2LA+20+0:vgprG2LA+20+0+1], v[24:31]
 // Cr += Ar*Br
/*  mfmaIndex:21  */
/* localReadsVacancy: latencyLeft 5 */
v_mfma_f64_16x16x4f64 v[88+0:95+0], v[vgprValuB_X0_I0+4+0+0:vgprValuB_X0_I0+4+0+0+1], v[vgprG2LA+20+0+2:vgprG2LA+20+0+2+1], v[88:95]
 // Ci += Ai*Br
/*  mfmaIndex:22  */
/* localReadsVacancy: latencyLeft 5 */
v_mfma_f64_16x16x4f64 v[24+0:31+0], v[vgprValuB_X0_I0+4+0+0+2:vgprValuB_X0_I0+4+0+0+2+1], v[vgprG2LA+20+0+2:vgprG2LA+20+0+2+1], v[24:31]
 // Cr += Ai*Bi
/*  mfmaIndex:23  */
/* localReadsVacancy: latencyLeft 5 */
v_mfma_f64_16x16x4f64 v[88+0:95+0], v[vgprValuB_X0_I0+4+0+0+2:vgprValuB_X0_I0+4+0+0+2+1], v[220:221], v[88:95]
 // Ci += -Ar*Bi
/*  mfmaIndex:24  */
/* localReadsVacancy: latencyLeft 5 */
	;; [unrolled: 16-line block ×3, first 2 shown]
v_mfma_f64_16x16x4f64 v[56+0:63+0], v[vgprValuB_X0_I0+12+0+0:vgprValuB_X0_I0+12+0+0+1], v[vgprG2LA+20+0:vgprG2LA+20+0+1], v[56:63]
 // Cr += Ar*Br
/*  mfmaIndex:29  */
/* localReadsVacancy: latencyLeft 5 */
v_mfma_f64_16x16x4f64 v[120+0:127+0], v[vgprValuB_X0_I0+12+0+0:vgprValuB_X0_I0+12+0+0+1], v[vgprG2LA+20+0+2:vgprG2LA+20+0+2+1], v[120:127]
 // Ci += Ai*Br
/*  mfmaIndex:30  */
/* localReadsVacancy: latencyLeft 5 */
v_mfma_f64_16x16x4f64 v[56+0:63+0], v[vgprValuB_X0_I0+12+0+0+2:vgprValuB_X0_I0+12+0+0+2+1], v[vgprG2LA+20+0+2:vgprG2LA+20+0+2+1], v[56:63]
 // Cr += Ai*Bi
/*  mfmaIndex:31  */
/* localReadsVacancy: latencyLeft 5 */
v_mfma_f64_16x16x4f64 v[120+0:127+0], v[vgprValuB_X0_I0+12+0+0+2:vgprValuB_X0_I0+12+0+0+2+1], v[220:221], v[120:127]
 // Ci += -Ar*Bi
/* numPrefetchIter=0 */
/* dataAtIterA=-1 numReadsIterA=1 skipReadsIterA=1 readsPerIterA=2 */
/* dataAtIterB=-1 numReadsIterB=1 skipReadsIterB=1 readsPerIterB=4 */


/* iter 1 (last unrolled loop) */

s_waitcnt vmcnt(0)                                 // lgkmcnt=-1 vmcnt=0global read wait for DirectToVgpr

/*  grEndMfmaIndex:0, lwStartMfmaIndex:31, lwEndMfmaIndex:31  */
/*  numMfmaForLR:10, barrierMfmaIndex:53, LocalWritePerMfma:0.165 */
/*  mfmaIndex:32  */
s_waitcnt lgkmcnt(0)                               // lgkmcnt=0 vmcnt=-1wait for prior local read local write old=0, new=0 newLW=0 newLR=0
v_add_f64 v[220:221], -v[vgprG2LA+24+0:vgprG2LA+24+0+1], 0 // Ar=-Ar
v_mfma_f64_16x16x4f64 v[0+0:7+0], v[vgprValuB_X1_I0+0+0+0:vgprValuB_X1_I0+0+0+0+1], v[vgprG2LA+24+0:vgprG2LA+24+0+1], v[0:7]
 // Cr += Ar*Br
/*  mfmaIndex:33  */
v_mfma_f64_16x16x4f64 v[64+0:71+0], v[vgprValuB_X1_I0+0+0+0:vgprValuB_X1_I0+0+0+0+1], v[vgprG2LA+24+0+2:vgprG2LA+24+0+2+1], v[64:71]
 // Ci += Ai*Br
/*  mfmaIndex:34  */
v_mfma_f64_16x16x4f64 v[0+0:7+0], v[vgprValuB_X1_I0+0+0+0+2:vgprValuB_X1_I0+0+0+0+2+1], v[vgprG2LA+24+0+2:vgprG2LA+24+0+2+1], v[0:7]
 // Cr += Ai*Bi
/*  mfmaIndex:35  */
v_mfma_f64_16x16x4f64 v[64+0:71+0], v[vgprValuB_X1_I0+0+0+0+2:vgprValuB_X1_I0+0+0+0+2+1], v[220:221], v[64:71]
 // Ci += -Ar*Bi
/*  mfmaIndex:36  */
v_mfma_f64_16x16x4f64 v[16+0:23+0], v[vgprValuB_X1_I0+4+0+0:vgprValuB_X1_I0+4+0+0+1], v[vgprG2LA+24+0:vgprG2LA+24+0+1], v[16:23]
 // Cr += Ar*Br
/*  mfmaIndex:37  */
v_mfma_f64_16x16x4f64 v[80+0:87+0], v[vgprValuB_X1_I0+4+0+0:vgprValuB_X1_I0+4+0+0+1], v[vgprG2LA+24+0+2:vgprG2LA+24+0+2+1], v[80:87]
 // Ci += Ai*Br
/*  mfmaIndex:38  */
v_mfma_f64_16x16x4f64 v[16+0:23+0], v[vgprValuB_X1_I0+4+0+0+2:vgprValuB_X1_I0+4+0+0+2+1], v[vgprG2LA+24+0+2:vgprG2LA+24+0+2+1], v[16:23]
 // Cr += Ai*Bi
/*  mfmaIndex:39  */
v_mfma_f64_16x16x4f64 v[80+0:87+0], v[vgprValuB_X1_I0+4+0+0+2:vgprValuB_X1_I0+4+0+0+2+1], v[220:221], v[80:87]
 // Ci += -Ar*Bi
/*  mfmaIndex:40  */
	;; [unrolled: 12-line block ×4, first 2 shown]
v_add_f64 v[220:221], -v[vgprG2LA+28+0:vgprG2LA+28+0+1], 0 // Ar=-Ar
v_mfma_f64_16x16x4f64 v[8+0:15+0], v[vgprValuB_X1_I0+0+0+0:vgprValuB_X1_I0+0+0+0+1], v[vgprG2LA+28+0:vgprG2LA+28+0+1], v[8:15]
 // Cr += Ar*Br
/*  mfmaIndex:49  */
v_mfma_f64_16x16x4f64 v[72+0:79+0], v[vgprValuB_X1_I0+0+0+0:vgprValuB_X1_I0+0+0+0+1], v[vgprG2LA+28+0+2:vgprG2LA+28+0+2+1], v[72:79]
 // Ci += Ai*Br
/*  mfmaIndex:50  */
v_mfma_f64_16x16x4f64 v[8+0:15+0], v[vgprValuB_X1_I0+0+0+0+2:vgprValuB_X1_I0+0+0+0+2+1], v[vgprG2LA+28+0+2:vgprG2LA+28+0+2+1], v[8:15]
 // Cr += Ai*Bi
/*  mfmaIndex:51  */
v_mfma_f64_16x16x4f64 v[72+0:79+0], v[vgprValuB_X1_I0+0+0+0+2:vgprValuB_X1_I0+0+0+0+2+1], v[220:221], v[72:79]
 // Ci += -Ar*Bi
/*  mfmaIndex:52  */
v_mfma_f64_16x16x4f64 v[24+0:31+0], v[vgprValuB_X1_I0+4+0+0:vgprValuB_X1_I0+4+0+0+1], v[vgprG2LA+28+0:vgprG2LA+28+0+1], v[24:31]
 // Cr += Ar*Br
/*  mfmaIndex:53  */
v_mfma_f64_16x16x4f64 v[88+0:95+0], v[vgprValuB_X1_I0+4+0+0:vgprValuB_X1_I0+4+0+0+1], v[vgprG2LA+28+0+2:vgprG2LA+28+0+2+1], v[88:95]
 // Ci += Ai*Br
/*  mfmaIndex:54  */
v_mfma_f64_16x16x4f64 v[24+0:31+0], v[vgprValuB_X1_I0+4+0+0+2:vgprValuB_X1_I0+4+0+0+2+1], v[vgprG2LA+28+0+2:vgprG2LA+28+0+2+1], v[24:31]
 // Cr += Ai*Bi
/*  mfmaIndex:55  */
v_mfma_f64_16x16x4f64 v[88+0:95+0], v[vgprValuB_X1_I0+4+0+0+2:vgprValuB_X1_I0+4+0+0+2+1], v[220:221], v[88:95]
 // Ci += -Ar*Bi
/*  mfmaIndex:56  */
	;; [unrolled: 12-line block ×3, first 2 shown]
v_mfma_f64_16x16x4f64 v[56+0:63+0], v[vgprValuB_X1_I0+12+0+0:vgprValuB_X1_I0+12+0+0+1], v[vgprG2LA+28+0:vgprG2LA+28+0+1], v[56:63]
 // Cr += Ar*Br
/*  mfmaIndex:61  */
v_mfma_f64_16x16x4f64 v[120+0:127+0], v[vgprValuB_X1_I0+12+0+0:vgprValuB_X1_I0+12+0+0+1], v[vgprG2LA+28+0+2:vgprG2LA+28+0+2+1], v[120:127]
 // Ci += Ai*Br
/*  mfmaIndex:62  */
v_mfma_f64_16x16x4f64 v[56+0:63+0], v[vgprValuB_X1_I0+12+0+0+2:vgprValuB_X1_I0+12+0+0+2+1], v[vgprG2LA+28+0+2:vgprG2LA+28+0+2+1], v[56:63]
 // Cr += Ai*Bi
/*  mfmaIndex:63  */
v_mfma_f64_16x16x4f64 v[120+0:127+0], v[vgprValuB_X1_I0+12+0+0+2:vgprValuB_X1_I0+12+0+0+2+1], v[220:221], v[120:127]
 // Ci += -Ar*Bi
/* numPrefetchIter=0 */
/* dataAtIterA=0 numReadsIterA=1 skipReadsIterA=0 readsPerIterA=2 */
/* dataAtIterB=0 numReadsIterB=1 skipReadsIterB=0 readsPerIterB=4 */

label_0020: // EvenEndNoLoadLoopOrd 

PrefetchGlobalLastIterEnd_5:


/******************************************/
/* Tail Loop                              */
/******************************************/


/* local write reset offsets a */


	;; [unrolled: 1-line block ×4, first 2 shown]
/* local write reset offsets b */


v_and_b32 v[vgprLocalWriteAddrB], 0xf01fff, v[vgprLocalWriteAddrB] // reset to Red


//numIterL = (((sizeL % LOCAL_DEPTHU) + LOCAL_SPLITU - 1) / LOCAL_SPLITU)
s_and_b32 s[sgprLoopCounterL], 7, s[sgprSizesSum+0] // s[sgprLoopCounterL] = s[sgprSizesSum+0] % 8
s_cmp_eq_u32 s[sgprLoopCounterL], 0x0              // numIterL == 0
s_cbranch_scc1 SkipTailLoopL_8                     // skip to end of tail loop b/c numIter==0
s_mov_b32 s[sgprOrigLoopCounter], 0                // repurpose to count each localRead increment


/* Update M0 for DTLDS */


	;; [unrolled: 1-line block ×3, first 2 shown]
/* global read b */

/* global addressing - max read address = Tensor2dSizeB */
s_mul_hi_u32 s1, s[sgprWorkGroup2], s[sgprStrideBK] // 64b tensorB size in elements
s_mul_i32 s0, s[sgprWorkGroup2], s[sgprStrideBK]   // 64b tensorB size in elements
s_add_u32 s0, s[sgprTensor2dSizeB], s0             // add Tensor2dSizeB
s_addc_u32 s1, s[sgprTensor2dSizeB+1], s1          // add Tensor2dSizeB
s_lshl_b64 s[0:1], s[0:1], 0x4                     // <- tensorB size in bytes
s_add_u32 s0, s18, s0                              // prepend address lower
s_addc_u32 s1, s19, s1                             // prepend address upper
v_mov_b32 v220, s0                                 // sgpr->vgpr
v_mov_b32 v221, s1                                 // sgpr->vgpr
s_mov_b64 s[0:1], 0xFFFFFFFFFFFFFFFF               // to restore all threads active
v_mov_b32 v222, 0x10                               // bpe*numElementsPerLoad
v_mov_b32 v223, 0x0                                // zero
/* g2l=0, load component 0 */
_v_cmpx_lt_u64 vcc, v[vgprGlobalReadAddrB+0:vgprGlobalReadAddrB+0+1], v[220:221] // addr < maxAddr
_global_load_b128 v[vgprG2LB+0+0:vgprG2LB+0+0+3], v[vgprGlobalReadAddrB+0:vgprGlobalReadAddrB+0+1], off, offset:0 // load one global value
s_or_saveexec_b64 vcc, s[0:1]                      // all threads active
_v_add_co_u32 v[vgprGlobalReadAddrB+0+0], vcc, v[vgprGlobalReadAddrB+0+0], v222 // gra += 1 (lower)
_v_addc_co_u32 v[vgprGlobalReadAddrB+0+1], vcc, v[vgprGlobalReadAddrB+0+1], v223, vcc // gra += 1 (upper)
/* g2l=4, load component 0 */
_v_cmpx_lt_u64 vcc, v[vgprGlobalReadAddrB+2:vgprGlobalReadAddrB+2+1], v[220:221] // addr < maxAddr
_global_load_b128 v[vgprG2LB+4+0:vgprG2LB+4+0+3], v[vgprGlobalReadAddrB+2:vgprGlobalReadAddrB+2+1], off, offset:0 // load one global value
s_or_saveexec_b64 vcc, s[0:1]                      // all threads active
_v_add_co_u32 v[vgprGlobalReadAddrB+2+0], vcc, v[vgprGlobalReadAddrB+2+0], v222 // gra += 1 (lower)
_v_addc_co_u32 v[vgprGlobalReadAddrB+2+1], vcc, v[vgprGlobalReadAddrB+2+1], v223, vcc // gra += 1 (upper)


/* Update M0 for DTLDS */


	;; [unrolled: 1-line block ×3, first 2 shown]
/* global read a */

/* global addressing - max read address = Tensor2dSizeA */
s_mul_hi_u32 s1, s[sgprWorkGroup2], s[sgprStrideAK] // 64b tensorA size in elements
s_mul_i32 s0, s[sgprWorkGroup2], s[sgprStrideAK]   // 64b tensorA size in elements
s_add_u32 s0, s[sgprTensor2dSizeA], s0             // add Tensor2dSizeA
s_addc_u32 s1, s[sgprTensor2dSizeA+1], s1          // add Tensor2dSizeA
s_lshl_b64 s[0:1], s[0:1], 0x4                     // <- tensorA size in bytes
s_add_u32 s0, s16, s0                              // prepend address lower
s_addc_u32 s1, s17, s1                             // prepend address upper
v_mov_b32 v220, s0                                 // sgpr->vgpr
v_mov_b32 v221, s1                                 // sgpr->vgpr
s_mov_b64 s[0:1], 0xFFFFFFFFFFFFFFFF               // to restore all threads active
v_mov_b32 v222, 0x10                               // bpe*numElementsPerLoad
v_mov_b32 v223, 0x0                                // zero
/* g2l=0, load component 0 */
_v_cmpx_lt_u64 vcc, v[vgprGlobalReadAddrA+0:vgprGlobalReadAddrA+0+1], v[220:221] // addr < maxAddr
_global_load_b128 v[vgprG2LA+0+0:vgprG2LA+0+0+3], v[vgprGlobalReadAddrA+0:vgprGlobalReadAddrA+0+1], off, offset:0 // load one global value
s_or_saveexec_b64 vcc, s[0:1]                      // all threads active
_v_add_co_u32 v[vgprGlobalReadAddrA+0+0], vcc, v[vgprGlobalReadAddrA+0+0], v222 // gra += 1 (lower)
_v_addc_co_u32 v[vgprGlobalReadAddrA+0+1], vcc, v[vgprGlobalReadAddrA+0+1], v223, vcc // gra += 1 (upper)
/* g2l=4, load component 0 */
_v_cmpx_lt_u64 vcc, v[vgprGlobalReadAddrA+2:vgprGlobalReadAddrA+2+1], v[220:221] // addr < maxAddr
_global_load_b128 v[vgprG2LA+4+0:vgprG2LA+4+0+3], v[vgprGlobalReadAddrA+2:vgprGlobalReadAddrA+2+1], off, offset:0 // load one global value
s_or_saveexec_b64 vcc, s[0:1]                      // all threads active
_v_add_co_u32 v[vgprGlobalReadAddrA+2+0], vcc, v[vgprGlobalReadAddrA+2+0], v222 // gra += 1 (lower)
_v_addc_co_u32 v[vgprGlobalReadAddrA+2+1], vcc, v[vgprGlobalReadAddrA+2+1], v223, vcc // gra += 1 (upper)
	;; [unrolled: 6-line block ×4, first 2 shown]

s_waitcnt vmcnt(0)                                 // lgkmcnt=-1 vmcnt=02wait for global read

// Skip force waitcnt0
s_barrier //


/* Done global A/B reads */




/* local write a */


	;; [unrolled: 1-line block ×3, first 2 shown]
/* local write b */

_ds_store_b128 v[vgprLocalWriteAddrB], v[vgprG2LB+0:vgprG2LB+0+3] offset:0 // lwoB_0_0_0_0 = (0*LSCB) + (0*LSPB)(*MT1J+PAD) = 0
_ds_store_b128 v[vgprLocalWriteAddrB], v[vgprG2LB+4:vgprG2LB+4+3] offset:4096 // lwoB_0_0_1_0 = (0*LSCB) + (1*LSPB)(*MT1J+PAD) = 4096

s_waitcnt lgkmcnt(0)                               // lgkmcnt=0 vmcnt=-15wait for local write

// Skip force waitcnt0
s_barrier //


/* local read reset offsets a */


	;; [unrolled: 1-line block ×3, first 2 shown]
/* local read reset offsets b */


/* localReadResetOffsets */
/* handled internally */
v_and_b32 v[vgprLocalReadAddrB], 0x1fff, v[vgprLocalReadAddrB] // reset Red,Blk -> Red


/* local read init pointers a */


	;; [unrolled: 1-line block ×3, first 2 shown]
/* local read init pointers b */


/* localReadInitPointers */


/* tail loop: macs */

TailLoopBeginL_6:


/* tail loop unroll iter 0 */


/* local read a */


	;; [unrolled: 1-line block ×3, first 2 shown]
/* local read b */

_ds_load_b128 v[vgprValuB_X0_I0+0:vgprValuB_X0_I0+0+3], v[vgprLocalReadAddrB] offset:0 // L -> Reg lro=0 swapByteOffset=0 ti=16 vIdx=0 rIdx=0 oIdx=0 buffer=0 iui=0
_ds_load_b128 v[vgprValuB_X0_I0+4:vgprValuB_X0_I0+4+3], v[vgprLocalReadAddrB] offset:256 // L -> Reg lro=0 swapByteOffset=0 ti=16 vIdx=1 rIdx=0 oIdx=0 buffer=0 iui=0
	;; [unrolled: 1-line block ×4, first 2 shown]


/* local read inc a */


	;; [unrolled: 1-line block ×3, first 2 shown]
/* local read inc b */

s_mov_b32 s0, 0x1000                               // inc
_v_add_co_u32 v[vgprLocalReadAddrB], vcc, s0, v[vgprLocalReadAddrB] // lrB += 4096 (LSU*(MT+PAD)*bpe)

s_waitcnt lgkmcnt(0)                               // lgkmcnt=0 vmcnt=-14wait for local read


	;; [unrolled: 1-line block ×3, first 2 shown]
/* tail loop mfma iter 0: numReadsIterCoalescedA=1, numReadsIterCoalescedB=1 */
v_and_b32 v220, 63, v[vgprSerial]                  // v220 = v[vgprSerial] % 64
v_lshrrev_b32 v220, 4, v220                        // v220 = v220 / 16
                                                   // v220 = v220 * 1 (multiplier is 1, do nothing)
v_cmp_ge_i32 s[46:47], v220, s[sgprLoopCounterL]   // check K index >= Size L
v_cndmask_b32 v[vgprG2LA+0+0+0], v[vgprG2LA+0+0+0], 0x0, s[46:47] // set 0 if K_idx >= sizeL
v_cndmask_b32 v[vgprG2LA+4+0+0], v[vgprG2LA+4+0+0], 0x0, s[46:47] // set 0 if K_idx >= sizeL
v_cndmask_b32 v[vgprValuB_X0_I0+0+0+0+0], v[vgprValuB_X0_I0+0+0+0+0], 0x0, s[46:47] // set 0 if K_idx >= sizeL
v_cndmask_b32 v[vgprValuB_X0_I0+4+0+0+0], v[vgprValuB_X0_I0+4+0+0+0], 0x0, s[46:47] // set 0 if K_idx >= sizeL
v_cndmask_b32 v[vgprValuB_X0_I0+8+0+0+0], v[vgprValuB_X0_I0+8+0+0+0], 0x0, s[46:47] // set 0 if K_idx >= sizeL
v_cndmask_b32 v[vgprValuB_X0_I0+12+0+0+0], v[vgprValuB_X0_I0+12+0+0+0], 0x0, s[46:47] // set 0 if K_idx >= sizeL
v_cndmask_b32 v[vgprG2LA+0+0+1], v[vgprG2LA+0+0+1], 0x0, s[46:47] // set 0 if K_idx >= sizeL
v_cndmask_b32 v[vgprG2LA+4+0+1], v[vgprG2LA+4+0+1], 0x0, s[46:47] // set 0 if K_idx >= sizeL
v_cndmask_b32 v[vgprValuB_X0_I0+0+0+0+1], v[vgprValuB_X0_I0+0+0+0+1], 0x0, s[46:47] // set 0 if K_idx >= sizeL
v_cndmask_b32 v[vgprValuB_X0_I0+4+0+0+1], v[vgprValuB_X0_I0+4+0+0+1], 0x0, s[46:47] // set 0 if K_idx >= sizeL
v_cndmask_b32 v[vgprValuB_X0_I0+8+0+0+1], v[vgprValuB_X0_I0+8+0+0+1], 0x0, s[46:47] // set 0 if K_idx >= sizeL
v_cndmask_b32 v[vgprValuB_X0_I0+12+0+0+1], v[vgprValuB_X0_I0+12+0+0+1], 0x0, s[46:47] // set 0 if K_idx >= sizeL
	;; [unrolled: 6-line block ×4, first 2 shown]
s_nop 1
v_add_f64 v[220:221], -v[vgprG2LA+0+0:vgprG2LA+0+0+1], 0 // Ar=-Ar
v_mfma_f64_16x16x4f64 v[0+0:7+0], v[vgprValuB_X0_I0+0+0+0:vgprValuB_X0_I0+0+0+0+1], v[vgprG2LA+0+0:vgprG2LA+0+0+1], v[0:7]
 // Cr += Ar*Br
v_mfma_f64_16x16x4f64 v[64+0:71+0], v[vgprValuB_X0_I0+0+0+0:vgprValuB_X0_I0+0+0+0+1], v[vgprG2LA+0+0+2:vgprG2LA+0+0+2+1], v[64:71]
 // Ci += Ai*Br
v_mfma_f64_16x16x4f64 v[0+0:7+0], v[vgprValuB_X0_I0+0+0+0+2:vgprValuB_X0_I0+0+0+0+2+1], v[vgprG2LA+0+0+2:vgprG2LA+0+0+2+1], v[0:7]
 // Cr += Ai*Bi
v_mfma_f64_16x16x4f64 v[64+0:71+0], v[vgprValuB_X0_I0+0+0+0+2:vgprValuB_X0_I0+0+0+0+2+1], v[220:221], v[64:71]
 // Ci += -Ar*Bi
v_mfma_f64_16x16x4f64 v[16+0:23+0], v[vgprValuB_X0_I0+4+0+0:vgprValuB_X0_I0+4+0+0+1], v[vgprG2LA+0+0:vgprG2LA+0+0+1], v[16:23]
 // Cr += Ar*Br
v_mfma_f64_16x16x4f64 v[80+0:87+0], v[vgprValuB_X0_I0+4+0+0:vgprValuB_X0_I0+4+0+0+1], v[vgprG2LA+0+0+2:vgprG2LA+0+0+2+1], v[80:87]
 // Ci += Ai*Br
v_mfma_f64_16x16x4f64 v[16+0:23+0], v[vgprValuB_X0_I0+4+0+0+2:vgprValuB_X0_I0+4+0+0+2+1], v[vgprG2LA+0+0+2:vgprG2LA+0+0+2+1], v[16:23]
 // Cr += Ai*Bi
v_mfma_f64_16x16x4f64 v[80+0:87+0], v[vgprValuB_X0_I0+4+0+0+2:vgprValuB_X0_I0+4+0+0+2+1], v[220:221], v[80:87]
 // Ci += -Ar*Bi
	;; [unrolled: 8-line block ×4, first 2 shown]
v_add_f64 v[220:221], -v[vgprG2LA+4+0:vgprG2LA+4+0+1], 0 // Ar=-Ar
v_mfma_f64_16x16x4f64 v[8+0:15+0], v[vgprValuB_X0_I0+0+0+0:vgprValuB_X0_I0+0+0+0+1], v[vgprG2LA+4+0:vgprG2LA+4+0+1], v[8:15]
 // Cr += Ar*Br
v_mfma_f64_16x16x4f64 v[72+0:79+0], v[vgprValuB_X0_I0+0+0+0:vgprValuB_X0_I0+0+0+0+1], v[vgprG2LA+4+0+2:vgprG2LA+4+0+2+1], v[72:79]
 // Ci += Ai*Br
v_mfma_f64_16x16x4f64 v[8+0:15+0], v[vgprValuB_X0_I0+0+0+0+2:vgprValuB_X0_I0+0+0+0+2+1], v[vgprG2LA+4+0+2:vgprG2LA+4+0+2+1], v[8:15]
 // Cr += Ai*Bi
v_mfma_f64_16x16x4f64 v[72+0:79+0], v[vgprValuB_X0_I0+0+0+0+2:vgprValuB_X0_I0+0+0+0+2+1], v[220:221], v[72:79]
 // Ci += -Ar*Bi
v_mfma_f64_16x16x4f64 v[24+0:31+0], v[vgprValuB_X0_I0+4+0+0:vgprValuB_X0_I0+4+0+0+1], v[vgprG2LA+4+0:vgprG2LA+4+0+1], v[24:31]
 // Cr += Ar*Br
v_mfma_f64_16x16x4f64 v[88+0:95+0], v[vgprValuB_X0_I0+4+0+0:vgprValuB_X0_I0+4+0+0+1], v[vgprG2LA+4+0+2:vgprG2LA+4+0+2+1], v[88:95]
 // Ci += Ai*Br
v_mfma_f64_16x16x4f64 v[24+0:31+0], v[vgprValuB_X0_I0+4+0+0+2:vgprValuB_X0_I0+4+0+0+2+1], v[vgprG2LA+4+0+2:vgprG2LA+4+0+2+1], v[24:31]
 // Cr += Ai*Bi
v_mfma_f64_16x16x4f64 v[88+0:95+0], v[vgprValuB_X0_I0+4+0+0+2:vgprValuB_X0_I0+4+0+0+2+1], v[220:221], v[88:95]
 // Ci += -Ar*Bi
	;; [unrolled: 8-line block ×4, first 2 shown]


/* closeLoop loopL finalLoop=0 tailLoop=1 */
s_sub_i32 s[sgprLoopCounterL], s[sgprLoopCounterL], 0x4 // dec counterL (tailLoop)
s_add_u32 s[sgprOrigLoopCounter], s[sgprOrigLoopCounter], 0x4 // inc counterL
s_cmp_le_i32 s[sgprLoopCounterL], 0x0              // counterL<=0
s_cbranch_scc1 TailLoopEndL_7                      // exit LoopL


/* tail loop unroll iter 1 */


/* local read a */


	;; [unrolled: 1-line block ×3, first 2 shown]
/* local read b */

_ds_load_b128 v[vgprValuB_X1_I0+0:vgprValuB_X1_I0+0+3], v[vgprLocalReadAddrB] offset:0 // L -> Reg lro=0 swapByteOffset=0 ti=16 vIdx=0 rIdx=0 oIdx=0 buffer=1 iui=0
_ds_load_b128 v[vgprValuB_X1_I0+4:vgprValuB_X1_I0+4+3], v[vgprLocalReadAddrB] offset:256 // L -> Reg lro=0 swapByteOffset=0 ti=16 vIdx=1 rIdx=0 oIdx=0 buffer=1 iui=0
	;; [unrolled: 1-line block ×4, first 2 shown]


/* local read inc a */


	;; [unrolled: 1-line block ×3, first 2 shown]
/* local read inc b */

s_mov_b32 s0, 0x1000                               // inc
_v_add_co_u32 v[vgprLocalReadAddrB], vcc, s0, v[vgprLocalReadAddrB] // lrB += 4096 (LSU*(MT+PAD)*bpe)

s_waitcnt lgkmcnt(0)                               // lgkmcnt=0 vmcnt=-14wait for local read



/* tail loop mfma iter 1: numReadsIterCoalescedA=1, numReadsIterCoalescedB=1 */
v_and_b32 v220, 63, v[vgprSerial]                  // v220 = v[vgprSerial] % 64
v_lshrrev_b32 v220, 4, v220                        // v220 = v220 / 16
                                                   // v220 = v220 * 1 (multiplier is 1, do nothing)
v_cmp_ge_i32 s[46:47], v220, s[sgprLoopCounterL]   // check K index >= Size L
v_cndmask_b32 v[vgprG2LA+8+0+0], v[vgprG2LA+8+0+0], 0x0, s[46:47] // set 0 if K_idx >= sizeL
v_cndmask_b32 v[vgprG2LA+12+0+0], v[vgprG2LA+12+0+0], 0x0, s[46:47] // set 0 if K_idx >= sizeL
v_cndmask_b32 v[vgprValuB_X1_I0+0+0+0+0], v[vgprValuB_X1_I0+0+0+0+0], 0x0, s[46:47] // set 0 if K_idx >= sizeL
v_cndmask_b32 v[vgprValuB_X1_I0+4+0+0+0], v[vgprValuB_X1_I0+4+0+0+0], 0x0, s[46:47] // set 0 if K_idx >= sizeL
v_cndmask_b32 v[vgprValuB_X1_I0+8+0+0+0], v[vgprValuB_X1_I0+8+0+0+0], 0x0, s[46:47] // set 0 if K_idx >= sizeL
v_cndmask_b32 v[vgprValuB_X1_I0+12+0+0+0], v[vgprValuB_X1_I0+12+0+0+0], 0x0, s[46:47] // set 0 if K_idx >= sizeL
v_cndmask_b32 v[vgprG2LA+8+0+1], v[vgprG2LA+8+0+1], 0x0, s[46:47] // set 0 if K_idx >= sizeL
v_cndmask_b32 v[vgprG2LA+12+0+1], v[vgprG2LA+12+0+1], 0x0, s[46:47] // set 0 if K_idx >= sizeL
v_cndmask_b32 v[vgprValuB_X1_I0+0+0+0+1], v[vgprValuB_X1_I0+0+0+0+1], 0x0, s[46:47] // set 0 if K_idx >= sizeL
v_cndmask_b32 v[vgprValuB_X1_I0+4+0+0+1], v[vgprValuB_X1_I0+4+0+0+1], 0x0, s[46:47] // set 0 if K_idx >= sizeL
v_cndmask_b32 v[vgprValuB_X1_I0+8+0+0+1], v[vgprValuB_X1_I0+8+0+0+1], 0x0, s[46:47] // set 0 if K_idx >= sizeL
v_cndmask_b32 v[vgprValuB_X1_I0+12+0+0+1], v[vgprValuB_X1_I0+12+0+0+1], 0x0, s[46:47] // set 0 if K_idx >= sizeL
v_cndmask_b32 v[vgprG2LA+8+0+2], v[vgprG2LA+8+0+2], 0x0, s[46:47] // set 0 if K_idx >= sizeL
v_cndmask_b32 v[vgprG2LA+12+0+2], v[vgprG2LA+12+0+2], 0x0, s[46:47] // set 0 if K_idx >= sizeL
v_cndmask_b32 v[vgprValuB_X1_I0+0+0+0+2], v[vgprValuB_X1_I0+0+0+0+2], 0x0, s[46:47] // set 0 if K_idx >= sizeL
v_cndmask_b32 v[vgprValuB_X1_I0+4+0+0+2], v[vgprValuB_X1_I0+4+0+0+2], 0x0, s[46:47] // set 0 if K_idx >= sizeL
v_cndmask_b32 v[vgprValuB_X1_I0+8+0+0+2], v[vgprValuB_X1_I0+8+0+0+2], 0x0, s[46:47] // set 0 if K_idx >= sizeL
v_cndmask_b32 v[vgprValuB_X1_I0+12+0+0+2], v[vgprValuB_X1_I0+12+0+0+2], 0x0, s[46:47] // set 0 if K_idx >= sizeL
v_cndmask_b32 v[vgprG2LA+8+0+3], v[vgprG2LA+8+0+3], 0x0, s[46:47] // set 0 if K_idx >= sizeL
v_cndmask_b32 v[vgprG2LA+12+0+3], v[vgprG2LA+12+0+3], 0x0, s[46:47] // set 0 if K_idx >= sizeL
v_cndmask_b32 v[vgprValuB_X1_I0+0+0+0+3], v[vgprValuB_X1_I0+0+0+0+3], 0x0, s[46:47] // set 0 if K_idx >= sizeL
v_cndmask_b32 v[vgprValuB_X1_I0+4+0+0+3], v[vgprValuB_X1_I0+4+0+0+3], 0x0, s[46:47] // set 0 if K_idx >= sizeL
v_cndmask_b32 v[vgprValuB_X1_I0+8+0+0+3], v[vgprValuB_X1_I0+8+0+0+3], 0x0, s[46:47] // set 0 if K_idx >= sizeL
v_cndmask_b32 v[vgprValuB_X1_I0+12+0+0+3], v[vgprValuB_X1_I0+12+0+0+3], 0x0, s[46:47] // set 0 if K_idx >= sizeL
s_nop 1
v_add_f64 v[220:221], -v[vgprG2LA+8+0:vgprG2LA+8+0+1], 0 // Ar=-Ar
v_mfma_f64_16x16x4f64 v[0+0:7+0], v[vgprValuB_X1_I0+0+0+0:vgprValuB_X1_I0+0+0+0+1], v[vgprG2LA+8+0:vgprG2LA+8+0+1], v[0:7]
 // Cr += Ar*Br
v_mfma_f64_16x16x4f64 v[64+0:71+0], v[vgprValuB_X1_I0+0+0+0:vgprValuB_X1_I0+0+0+0+1], v[vgprG2LA+8+0+2:vgprG2LA+8+0+2+1], v[64:71]
 // Ci += Ai*Br
v_mfma_f64_16x16x4f64 v[0+0:7+0], v[vgprValuB_X1_I0+0+0+0+2:vgprValuB_X1_I0+0+0+0+2+1], v[vgprG2LA+8+0+2:vgprG2LA+8+0+2+1], v[0:7]
 // Cr += Ai*Bi
v_mfma_f64_16x16x4f64 v[64+0:71+0], v[vgprValuB_X1_I0+0+0+0+2:vgprValuB_X1_I0+0+0+0+2+1], v[220:221], v[64:71]
 // Ci += -Ar*Bi
v_mfma_f64_16x16x4f64 v[16+0:23+0], v[vgprValuB_X1_I0+4+0+0:vgprValuB_X1_I0+4+0+0+1], v[vgprG2LA+8+0:vgprG2LA+8+0+1], v[16:23]
 // Cr += Ar*Br
v_mfma_f64_16x16x4f64 v[80+0:87+0], v[vgprValuB_X1_I0+4+0+0:vgprValuB_X1_I0+4+0+0+1], v[vgprG2LA+8+0+2:vgprG2LA+8+0+2+1], v[80:87]
 // Ci += Ai*Br
v_mfma_f64_16x16x4f64 v[16+0:23+0], v[vgprValuB_X1_I0+4+0+0+2:vgprValuB_X1_I0+4+0+0+2+1], v[vgprG2LA+8+0+2:vgprG2LA+8+0+2+1], v[16:23]
 // Cr += Ai*Bi
v_mfma_f64_16x16x4f64 v[80+0:87+0], v[vgprValuB_X1_I0+4+0+0+2:vgprValuB_X1_I0+4+0+0+2+1], v[220:221], v[80:87]
 // Ci += -Ar*Bi
	;; [unrolled: 8-line block ×4, first 2 shown]
v_add_f64 v[220:221], -v[vgprG2LA+12+0:vgprG2LA+12+0+1], 0 // Ar=-Ar
v_mfma_f64_16x16x4f64 v[8+0:15+0], v[vgprValuB_X1_I0+0+0+0:vgprValuB_X1_I0+0+0+0+1], v[vgprG2LA+12+0:vgprG2LA+12+0+1], v[8:15]
 // Cr += Ar*Br
v_mfma_f64_16x16x4f64 v[72+0:79+0], v[vgprValuB_X1_I0+0+0+0:vgprValuB_X1_I0+0+0+0+1], v[vgprG2LA+12+0+2:vgprG2LA+12+0+2+1], v[72:79]
 // Ci += Ai*Br
v_mfma_f64_16x16x4f64 v[8+0:15+0], v[vgprValuB_X1_I0+0+0+0+2:vgprValuB_X1_I0+0+0+0+2+1], v[vgprG2LA+12+0+2:vgprG2LA+12+0+2+1], v[8:15]
 // Cr += Ai*Bi
v_mfma_f64_16x16x4f64 v[72+0:79+0], v[vgprValuB_X1_I0+0+0+0+2:vgprValuB_X1_I0+0+0+0+2+1], v[220:221], v[72:79]
 // Ci += -Ar*Bi
v_mfma_f64_16x16x4f64 v[24+0:31+0], v[vgprValuB_X1_I0+4+0+0:vgprValuB_X1_I0+4+0+0+1], v[vgprG2LA+12+0:vgprG2LA+12+0+1], v[24:31]
 // Cr += Ar*Br
v_mfma_f64_16x16x4f64 v[88+0:95+0], v[vgprValuB_X1_I0+4+0+0:vgprValuB_X1_I0+4+0+0+1], v[vgprG2LA+12+0+2:vgprG2LA+12+0+2+1], v[88:95]
 // Ci += Ai*Br
v_mfma_f64_16x16x4f64 v[24+0:31+0], v[vgprValuB_X1_I0+4+0+0+2:vgprValuB_X1_I0+4+0+0+2+1], v[vgprG2LA+12+0+2:vgprG2LA+12+0+2+1], v[24:31]
 // Cr += Ai*Bi
v_mfma_f64_16x16x4f64 v[88+0:95+0], v[vgprValuB_X1_I0+4+0+0+2:vgprValuB_X1_I0+4+0+0+2+1], v[220:221], v[88:95]
 // Ci += -Ar*Bi
	;; [unrolled: 8-line block ×4, first 2 shown]


/* closeLoop loopL finalLoop=1 tailLoop=1 */
s_sub_i32 s[sgprLoopCounterL], s[sgprLoopCounterL], 0x4 // dec counterL (tailLoop)
s_add_u32 s[sgprOrigLoopCounter], s[sgprOrigLoopCounter], 0x4 // inc counterL
s_cmp_le_i32 s[sgprLoopCounterL], 0x0              // counterL<=0
s_cbranch_scc0 TailLoopBeginL_6                    // restart LoopL
TailLoopEndL_7:

SkipTailLoopL_8:

Summation_End_23:
/* endSummation: add vgpr [128...218) to pool */
.set NumFullBlocks, UNDEF
.set WgmRemainder1, UNDEF
.set MagicNumberWgmRemainder1, UNDEF

/* Mapping of Acc register -> C Vgpr register */

/* Multiply MI out register with Alpha -> C Vgpr register */


	;; [unrolled: 1-line block ×3, first 2 shown]
/* not-LocalSplitU: global write indices */

/* computeStoreVgprs */
v_lshrrev_b32 v130, 6, v[vgprSerial]               // v130 = v[vgprSerial] / 64
v_and_b32 v129, 63, v[vgprSerial]                  // v129 = v[vgprSerial] % 64
v_lshrrev_b32 v129, 4, v129                        // v129 = v129 / 16
                                                   // thread0 * continuous_output (multiplier is 1, do nothing)
v_lshrrev_b32 v131, 2, v130                        // v131 = v130 / 4
v_mul_lo_u32 v131, 0x10, v131                      // wave coordination offset 1
_v_add_lshl_u32 v129, v131, v129, 0                // coordination 1 = vwb *(wave_id1 + tid1)
v_and_b32 v131, 3, v130                            // v131 = v130 % 4
v_mul_lo_u32 v131, 0x10, v131                      // wave coordination offset 0
v_and_b32 v128, 15, v[vgprSerial]                  // v128 = v[vgprSerial] % 16
_v_add_lshl_u32 v128, v131, v128, 0                // coordination 0 = vwa *(wave_id0 + tid0)
s_mul_i32 s0, 128, s[sgprWorkGroup0]               // wgp0 * MT0
_v_add_u32 v128, s0, v128                          // coord 0 = (tid0/MI_m)*4 + waveG0*MIB_m + MT0*SG0
s_mul_i32 s0, 64, s[sgprWorkGroup1]                // wgp1 * MT1
_v_add_u32 v129, s0, v129                          // coord 1 = (tid0%MI_m) + waveG1*MIB_n + MT1*SG1
v_mov_b32 v130, s[sgprAddressD+0]                  // sgpr -> vgpr
v_mov_b32 v131, s[sgprAddressD+1]                  // sgpr -> vgpr
v_mov_b32 v132, s[sgprAddressC+0]                  // sgpr -> vgpr
v_mov_b32 v133, s[sgprAddressC+1]                  // sgpr -> vgpr


/* not-LocalSplitU: global write */

s_mov_b32 s0, s[sgprBeta+0]                        // tmp = Beta[0]
s_or_b32 s0, s[sgprBeta+1], s0                     // tmp |= Beta[1] 
s_or_b32 s0, s[sgprBeta+2], s0                     // tmp |= Beta[2] 
	;; [unrolled: 1-line block ×3, first 2 shown]
s_cmpk_eq_u32 s0, 0x0                              // Beta == 0
s_cbranch_scc0 GW_Beta_38                          // Branch if Beta is not zero

s_and_b32 s42, 127, s[sgprSizeI]                   // s42 = s[sgprSizeI] % 128
s_add_u32 s43, -0x1, s[sgprNumWorkGroups0]         // 
s_cmp_ge_u32 s[sgprWorkGroup0], s43                // wg0 >= nwg0-1 ?
s_cselect_b32 s42, s42, 0                          // set rMT0
s_cmpk_gt_u32 s42, 0x0                             // rMT0 > 0
s_cbranch_scc1 GW_B0_E1_29                         // jump if edges required
s_and_b32 s42, 63, s[sgprSizeJ]                    // s42 = s[sgprSizeJ] % 64
s_add_u32 s43, -0x1, s[sgprNumWorkGroups1]         // 
s_cmp_ge_u32 s[sgprWorkGroup1], s43                // wg1 >= nwg1-1
s_cselect_b32 s42, s42, 0                          // set rMT1
s_cmpk_gt_u32 s42, 0x0                             // rMT1 > 0
s_cbranch_scc1 GW_B0_E1_29                         // jump if edges required
GW_B0_E0_26:

/* edge=0, allocate 6 sgpr. perBatchTmpS=4 perBatchMaskS=0 perElementMaskS=2 elementsPerBatch=1 */
/* optSingleColVgpr=0 optSharedColVgpr=0 optSGPRUsage=None optSrdIncForRow=0 */

/******************************************/
/* Global Write Alpha Batch #0 (d1,d0,vc1,vc0) = */
/*    (0,0,0,0:vw1)                       */
/******************************************/

/* calc coords, apply mask, and issue loads (if necessary) */
/* (d1,vc1,d0,vc0)=(0,0,0,0) */
GLOBAL_OFFSET_D 140, 128, 129, sgprWorkGroup2, 136
v_mov_b32 v136, v140                               // temp store offset 0
v_mov_b32 v137, v141                               // temp store offset 1
_v_add_co_u32 v140, vcc, v130, v136                // addrVgpr = D + index*bytes (lo)
_v_addc_co_u32 v141, vcc, v131, v137, vcc          // addrVgpr = D + index*bytes (hi)

/* rC *= alpha batchElements=[(0, 0, 0, 0)] */
v_mul_f64 v[134:135], s[sgprAlpha+0:sgprAlpha+0+1], v[vgprValuC+0:vgprValuC+0+1] // 
v_mul_f64 v[136:137], s[sgprAlpha+2:sgprAlpha+2+1], v[vgprValuC+0:vgprValuC+0+1] // 
v_fma_f64 v[vgprValuC+144:vgprValuC+144+1], s[sgprAlpha+2:sgprAlpha+2+1], -v[vgprValuC+64:vgprValuC+64+1], v[134:135]
v_fma_f64 v[vgprValuC+144 +2:vgprValuC+144 +2+1], s[sgprAlpha+0:sgprAlpha+0+1], v[vgprValuC+64:vgprValuC+64+1], v[136:137]

/* apply mask, calc new C and issue writes */
_global_store_b128 v[140:141], v[144:147], off     // store D
s_nop 0                                            // 1 wait state required when next inst writes vgprs held by previous dwordx4 store inst
/* optSingleColVgpr=0 optSharedColVgpr=0 optSGPRUsage=None optSrdIncForRow=0 */

/******************************************/
/* Global Write Alpha Batch #1 (d1,d0,vc1,vc0) = */
/*    (0,1,0,0:vw1)                       */
/******************************************/

/* calc coords, apply mask, and issue loads (if necessary) */
/* (d1,vc1,d0,vc0)=(0,0,1,0) */
_v_add_co_u32 v134, vcc, v128, 64                  // coord0.1: coord0 += d0*sg0*VW + vc0
GLOBAL_OFFSET_D 140, 134, 129, sgprWorkGroup2, 136
v_mov_b32 v136, v140                               // temp store offset 0
v_mov_b32 v137, v141                               // temp store offset 1
_v_add_co_u32 v140, vcc, v130, v136                // addrVgpr = D + index*bytes (lo)
_v_addc_co_u32 v141, vcc, v131, v137, vcc          // addrVgpr = D + index*bytes (hi)

/* rC *= alpha batchElements=[(0, 1, 0, 0)] */
v_mul_f64 v[134:135], s[sgprAlpha+0:sgprAlpha+0+1], v[vgprValuC+8:vgprValuC+8+1] // 
v_mul_f64 v[136:137], s[sgprAlpha+2:sgprAlpha+2+1], v[vgprValuC+8:vgprValuC+8+1] // 
v_fma_f64 v[vgprValuC+144:vgprValuC+144+1], s[sgprAlpha+2:sgprAlpha+2+1], -v[vgprValuC+72:vgprValuC+72+1], v[134:135]
v_fma_f64 v[vgprValuC+144 +2:vgprValuC+144 +2+1], s[sgprAlpha+0:sgprAlpha+0+1], v[vgprValuC+72:vgprValuC+72+1], v[136:137]

/* apply mask, calc new C and issue writes */
_global_store_b128 v[140:141], v[144:147], off     // store D
s_nop 0                                            // 1 wait state required when next inst writes vgprs held by previous dwordx4 store inst
/* optSingleColVgpr=0 optSharedColVgpr=0 optSGPRUsage=None optSrdIncForRow=0 */

/******************************************/
/* Global Write Alpha Batch #2 (d1,d0,vc1,vc0) = */
/*    (1,0,0,0:vw1)                       */
/******************************************/

/* calc coords, apply mask, and issue loads (if necessary) */
/* (d1,vc1,d0,vc0)=(1,0,0,0) */
_v_add_co_u32 v129, vcc, v129, 4                   // coord1.1: coord1Vgpr += d1*sg1*VW + vc1
GLOBAL_OFFSET_D 140, 128, 129, sgprWorkGroup2, 136
v_mov_b32 v136, v140                               // temp store offset 0
v_mov_b32 v137, v141                               // temp store offset 1
_v_add_co_u32 v140, vcc, v130, v136                // addrVgpr = D + index*bytes (lo)
_v_addc_co_u32 v141, vcc, v131, v137, vcc          // addrVgpr = D + index*bytes (hi)

/* rC *= alpha batchElements=[(1, 0, 0, 0)] */
v_mul_f64 v[134:135], s[sgprAlpha+0:sgprAlpha+0+1], v[vgprValuC+2:vgprValuC+2+1] // 
v_mul_f64 v[136:137], s[sgprAlpha+2:sgprAlpha+2+1], v[vgprValuC+2:vgprValuC+2+1] // 
v_fma_f64 v[vgprValuC+144:vgprValuC+144+1], s[sgprAlpha+2:sgprAlpha+2+1], -v[vgprValuC+66:vgprValuC+66+1], v[134:135]
v_fma_f64 v[vgprValuC+144 +2:vgprValuC+144 +2+1], s[sgprAlpha+0:sgprAlpha+0+1], v[vgprValuC+66:vgprValuC+66+1], v[136:137]

/* apply mask, calc new C and issue writes */
_global_store_b128 v[140:141], v[144:147], off     // store D
s_nop 0                                            // 1 wait state required when next inst writes vgprs held by previous dwordx4 store inst
/* optSingleColVgpr=0 optSharedColVgpr=0 optSGPRUsage=None optSrdIncForRow=0 */

/******************************************/
/* Global Write Alpha Batch #3 (d1,d0,vc1,vc0) = */
/*    (1,1,0,0:vw1)                       */
/******************************************/

/* calc coords, apply mask, and issue loads (if necessary) */
/* (d1,vc1,d0,vc0)=(1,0,1,0) */
_v_add_co_u32 v134, vcc, v128, 64                  // coord0.1: coord0 += d0*sg0*VW + vc0
GLOBAL_OFFSET_D 140, 134, 129, sgprWorkGroup2, 136
v_mov_b32 v136, v140                               // temp store offset 0
v_mov_b32 v137, v141                               // temp store offset 1
_v_add_co_u32 v140, vcc, v130, v136                // addrVgpr = D + index*bytes (lo)
_v_addc_co_u32 v141, vcc, v131, v137, vcc          // addrVgpr = D + index*bytes (hi)

/* rC *= alpha batchElements=[(1, 1, 0, 0)] */
v_mul_f64 v[134:135], s[sgprAlpha+0:sgprAlpha+0+1], v[vgprValuC+10:vgprValuC+10+1] // 
v_mul_f64 v[136:137], s[sgprAlpha+2:sgprAlpha+2+1], v[vgprValuC+10:vgprValuC+10+1] // 
v_fma_f64 v[vgprValuC+144:vgprValuC+144+1], s[sgprAlpha+2:sgprAlpha+2+1], -v[vgprValuC+74:vgprValuC+74+1], v[134:135]
v_fma_f64 v[vgprValuC+144 +2:vgprValuC+144 +2+1], s[sgprAlpha+0:sgprAlpha+0+1], v[vgprValuC+74:vgprValuC+74+1], v[136:137]

/* apply mask, calc new C and issue writes */
_global_store_b128 v[140:141], v[144:147], off     // store D
s_nop 0                                            // 1 wait state required when next inst writes vgprs held by previous dwordx4 store inst
/* optSingleColVgpr=0 optSharedColVgpr=0 optSGPRUsage=None optSrdIncForRow=0 */

/******************************************/
/* Global Write Alpha Batch #4 (d1,d0,vc1,vc0) = */
/*    (2,0,0,0:vw1)                       */
/******************************************/

/* calc coords, apply mask, and issue loads (if necessary) */
/* (d1,vc1,d0,vc0)=(2,0,0,0) */
_v_add_co_u32 v129, vcc, v129, 4                   // coord1.1: coord1Vgpr += d1*sg1*VW + vc1
	;; [unrolled: 50-line block ×9, first 2 shown]
GLOBAL_OFFSET_D 140, 128, 129, sgprWorkGroup2, 136
v_mov_b32 v136, v140                               // temp store offset 0
v_mov_b32 v137, v141                               // temp store offset 1
_v_add_co_u32 v140, vcc, v130, v136                // addrVgpr = D + index*bytes (lo)
_v_addc_co_u32 v141, vcc, v131, v137, vcc          // addrVgpr = D + index*bytes (hi)

/* rC *= alpha batchElements=[(9, 0, 0, 0)] */
v_mul_f64 v[134:135], s[sgprAlpha+0:sgprAlpha+0+1], v[vgprValuC+34:vgprValuC+34+1] // 
v_mul_f64 v[136:137], s[sgprAlpha+2:sgprAlpha+2+1], v[vgprValuC+34:vgprValuC+34+1] // 
v_fma_f64 v[vgprValuC+144:vgprValuC+144+1], s[sgprAlpha+2:sgprAlpha+2+1], -v[vgprValuC+98:vgprValuC+98+1], v[134:135]
v_fma_f64 v[vgprValuC+144 +2:vgprValuC+144 +2+1], s[sgprAlpha+0:sgprAlpha+0+1], v[vgprValuC+98:vgprValuC+98+1], v[136:137]

/* apply mask, calc new C and issue writes */
_global_store_b128 v[140:141], v[144:147], off     // store D
s_nop 0                                            // 1 wait state required when next inst writes vgprs held by previous dwordx4 store inst
/* optSingleColVgpr=0 optSharedColVgpr=0 optSGPRUsage=None optSrdIncForRow=0 */

/******************************************/
/* Global Write Alpha Batch #19 (d1,d0,vc1,vc0) = */
/*    (9,1,0,0:vw1)                       */
/******************************************/

/* calc coords, apply mask, and issue loads (if necessary) */
/* (d1,vc1,d0,vc0)=(9,0,1,0) */
_v_add_co_u32 v134, vcc, v128, 64                  // coord0.1: coord0 += d0*sg0*VW + vc0
GLOBAL_OFFSET_D 140, 134, 129, sgprWorkGroup2, 136
v_mov_b32 v136, v140                               // temp store offset 0
v_mov_b32 v137, v141                               // temp store offset 1
_v_add_co_u32 v140, vcc, v130, v136                // addrVgpr = D + index*bytes (lo)
_v_addc_co_u32 v141, vcc, v131, v137, vcc          // addrVgpr = D + index*bytes (hi)

/* rC *= alpha batchElements=[(9, 1, 0, 0)] */
v_mul_f64 v[134:135], s[sgprAlpha+0:sgprAlpha+0+1], v[vgprValuC+42:vgprValuC+42+1] // 
v_mul_f64 v[136:137], s[sgprAlpha+2:sgprAlpha+2+1], v[vgprValuC+42:vgprValuC+42+1] // 
v_fma_f64 v[vgprValuC+144:vgprValuC+144+1], s[sgprAlpha+2:sgprAlpha+2+1], -v[vgprValuC+106:vgprValuC+106+1], v[134:135]
v_fma_f64 v[vgprValuC+144 +2:vgprValuC+144 +2+1], s[sgprAlpha+0:sgprAlpha+0+1], v[vgprValuC+106:vgprValuC+106+1], v[136:137]

/* apply mask, calc new C and issue writes */
_global_store_b128 v[140:141], v[144:147], off     // store D
s_nop 0                                            // 1 wait state required when next inst writes vgprs held by previous dwordx4 store inst
/* optSingleColVgpr=0 optSharedColVgpr=0 optSGPRUsage=None optSrdIncForRow=0 */

/******************************************/
/* Global Write Alpha Batch #20 (d1,d0,vc1,vc0) = */
/*    (10,0,0,0:vw1)                      */
/******************************************/

/* calc coords, apply mask, and issue loads (if necessary) */
/* (d1,vc1,d0,vc0)=(10,0,0,0) */
_v_add_co_u32 v129, vcc, v129, 4                   // coord1.1: coord1Vgpr += d1*sg1*VW + vc1
GLOBAL_OFFSET_D 140, 128, 129, sgprWorkGroup2, 136
v_mov_b32 v136, v140                               // temp store offset 0
v_mov_b32 v137, v141                               // temp store offset 1
_v_add_co_u32 v140, vcc, v130, v136                // addrVgpr = D + index*bytes (lo)
_v_addc_co_u32 v141, vcc, v131, v137, vcc          // addrVgpr = D + index*bytes (hi)

/* rC *= alpha batchElements=[(10, 0, 0, 0)] */
v_mul_f64 v[134:135], s[sgprAlpha+0:sgprAlpha+0+1], v[vgprValuC+36:vgprValuC+36+1] // 
v_mul_f64 v[136:137], s[sgprAlpha+2:sgprAlpha+2+1], v[vgprValuC+36:vgprValuC+36+1] // 
v_fma_f64 v[vgprValuC+144:vgprValuC+144+1], s[sgprAlpha+2:sgprAlpha+2+1], -v[vgprValuC+100:vgprValuC+100+1], v[134:135]
v_fma_f64 v[vgprValuC+144 +2:vgprValuC+144 +2+1], s[sgprAlpha+0:sgprAlpha+0+1], v[vgprValuC+100:vgprValuC+100+1], v[136:137]

/* apply mask, calc new C and issue writes */
_global_store_b128 v[140:141], v[144:147], off     // store D
s_nop 0                                            // 1 wait state required when next inst writes vgprs held by previous dwordx4 store inst
/* optSingleColVgpr=0 optSharedColVgpr=0 optSGPRUsage=None optSrdIncForRow=0 */

/******************************************/
/* Global Write Alpha Batch #21 (d1,d0,vc1,vc0) = */
/*    (10,1,0,0:vw1)                      */
/******************************************/

/* calc coords, apply mask, and issue loads (if necessary) */
/* (d1,vc1,d0,vc0)=(10,0,1,0) */
_v_add_co_u32 v134, vcc, v128, 64                  // coord0.1: coord0 += d0*sg0*VW + vc0
GLOBAL_OFFSET_D 140, 134, 129, sgprWorkGroup2, 136
v_mov_b32 v136, v140                               // temp store offset 0
v_mov_b32 v137, v141                               // temp store offset 1
_v_add_co_u32 v140, vcc, v130, v136                // addrVgpr = D + index*bytes (lo)
_v_addc_co_u32 v141, vcc, v131, v137, vcc          // addrVgpr = D + index*bytes (hi)

/* rC *= alpha batchElements=[(10, 1, 0, 0)] */
v_mul_f64 v[134:135], s[sgprAlpha+0:sgprAlpha+0+1], v[vgprValuC+44:vgprValuC+44+1] // 
v_mul_f64 v[136:137], s[sgprAlpha+2:sgprAlpha+2+1], v[vgprValuC+44:vgprValuC+44+1] // 
v_fma_f64 v[vgprValuC+144:vgprValuC+144+1], s[sgprAlpha+2:sgprAlpha+2+1], -v[vgprValuC+108:vgprValuC+108+1], v[134:135]
v_fma_f64 v[vgprValuC+144 +2:vgprValuC+144 +2+1], s[sgprAlpha+0:sgprAlpha+0+1], v[vgprValuC+108:vgprValuC+108+1], v[136:137]

/* apply mask, calc new C and issue writes */
_global_store_b128 v[140:141], v[144:147], off     // store D
s_nop 0                                            // 1 wait state required when next inst writes vgprs held by previous dwordx4 store inst
/* optSingleColVgpr=0 optSharedColVgpr=0 optSGPRUsage=None optSrdIncForRow=0 */

/******************************************/
/* Global Write Alpha Batch #22 (d1,d0,vc1,vc0) = */
/*    (11,0,0,0:vw1)                      */
/******************************************/

/* calc coords, apply mask, and issue loads (if necessary) */
/* (d1,vc1,d0,vc0)=(11,0,0,0) */
_v_add_co_u32 v129, vcc, v129, 4                   // coord1.1: coord1Vgpr += d1*sg1*VW + vc1
GLOBAL_OFFSET_D 140, 128, 129, sgprWorkGroup2, 136
v_mov_b32 v136, v140                               // temp store offset 0
v_mov_b32 v137, v141                               // temp store offset 1
_v_add_co_u32 v140, vcc, v130, v136                // addrVgpr = D + index*bytes (lo)
_v_addc_co_u32 v141, vcc, v131, v137, vcc          // addrVgpr = D + index*bytes (hi)

/* rC *= alpha batchElements=[(11, 0, 0, 0)] */
v_mul_f64 v[134:135], s[sgprAlpha+0:sgprAlpha+0+1], v[vgprValuC+38:vgprValuC+38+1] // 
v_mul_f64 v[136:137], s[sgprAlpha+2:sgprAlpha+2+1], v[vgprValuC+38:vgprValuC+38+1] // 
v_fma_f64 v[vgprValuC+144:vgprValuC+144+1], s[sgprAlpha+2:sgprAlpha+2+1], -v[vgprValuC+102:vgprValuC+102+1], v[134:135]
v_fma_f64 v[vgprValuC+144 +2:vgprValuC+144 +2+1], s[sgprAlpha+0:sgprAlpha+0+1], v[vgprValuC+102:vgprValuC+102+1], v[136:137]

/* apply mask, calc new C and issue writes */
_global_store_b128 v[140:141], v[144:147], off     // store D
s_nop 0                                            // 1 wait state required when next inst writes vgprs held by previous dwordx4 store inst
/* optSingleColVgpr=0 optSharedColVgpr=0 optSGPRUsage=None optSrdIncForRow=0 */

/******************************************/
/* Global Write Alpha Batch #23 (d1,d0,vc1,vc0) = */
/*    (11,1,0,0:vw1)                      */
	;; [unrolled: 50-line block ×6, first 2 shown]
/******************************************/

/* calc coords, apply mask, and issue loads (if necessary) */
/* (d1,vc1,d0,vc0)=(15,0,1,0) */
_v_add_co_u32 v134, vcc, v128, 64                  // coord0.1: coord0 += d0*sg0*VW + vc0
GLOBAL_OFFSET_D 140, 134, 129, sgprWorkGroup2, 136
v_mov_b32 v136, v140                               // temp store offset 0
v_mov_b32 v137, v141                               // temp store offset 1
_v_add_co_u32 v140, vcc, v130, v136                // addrVgpr = D + index*bytes (lo)
_v_addc_co_u32 v141, vcc, v131, v137, vcc          // addrVgpr = D + index*bytes (hi)

/* rC *= alpha batchElements=[(15, 1, 0, 0)] */
v_mul_f64 v[134:135], s[sgprAlpha+0:sgprAlpha+0+1], v[vgprValuC+62:vgprValuC+62+1] // 
v_mul_f64 v[136:137], s[sgprAlpha+2:sgprAlpha+2+1], v[vgprValuC+62:vgprValuC+62+1] // 
v_fma_f64 v[vgprValuC+144:vgprValuC+144+1], s[sgprAlpha+2:sgprAlpha+2+1], -v[vgprValuC+126:vgprValuC+126+1], v[134:135]
v_fma_f64 v[vgprValuC+144 +2:vgprValuC+144 +2+1], s[sgprAlpha+0:sgprAlpha+0+1], v[vgprValuC+126:vgprValuC+126+1], v[136:137]

/* apply mask, calc new C and issue writes */
_global_store_b128 v[140:141], v[144:147], off     // store D
s_nop 0                                            // 1 wait state required when next inst writes vgprs held by previous dwordx4 store inst
s_branch label_GW_End_37                           // jump to end
GW_B0_E1_29:

/* edge=1, allocate 6 sgpr. perBatchTmpS=4 perBatchMaskS=0 perElementMaskS=2 elementsPerBatch=1 */
/* optSingleColVgpr=0 optSharedColVgpr=0 optSGPRUsage=None optSrdIncForRow=0 */

/******************************************/
/* Global Write Alpha Edge Batch #0 (d1,d0,vc1,vc0) = */
/*    (0,0,0,0:vw1)                       */
/******************************************/

/* calc coords, apply mask, and issue loads (if necessary) */
/* (d1,vc1,d0,vc0)=(0,0,0,0) */
GLOBAL_OFFSET_D 140, 128, 129, sgprWorkGroup2, 136
v_mov_b32 v136, v140                               // temp store offset 0
v_mov_b32 v137, v141                               // temp store offset 1
v_cmp_lt_u32 s[42:43], v128, s[sgprSizesFree+0]    // coord0 < size0
v_cmp_lt_u32 s[44:45], v129, s[sgprSizesFree+1]    // coord1 < size1
s_and_b64 s[46:47], s[42:43], s[44:45]             // in0 && in1
_v_add_co_u32 v140, vcc, v130, v136                // addrVgpr = D + index*bytes (lo)
_v_addc_co_u32 v141, vcc, v131, v137, vcc          // addrVgpr = D + index*bytes (hi)

/* rC *= alpha batchElements=[(0, 0, 0, 0)] */
v_mul_f64 v[134:135], s[sgprAlpha+0:sgprAlpha+0+1], v[vgprValuC+0:vgprValuC+0+1] // 
v_mul_f64 v[136:137], s[sgprAlpha+2:sgprAlpha+2+1], v[vgprValuC+0:vgprValuC+0+1] // 
v_fma_f64 v[vgprValuC+144:vgprValuC+144+1], s[sgprAlpha+2:sgprAlpha+2+1], -v[vgprValuC+64:vgprValuC+64+1], v[134:135]
v_fma_f64 v[vgprValuC+144 +2:vgprValuC+144 +2+1], s[sgprAlpha+0:sgprAlpha+0+1], v[vgprValuC+64:vgprValuC+64+1], v[136:137]

/* apply mask, calc new C and issue writes */
s_mov_b64 exec, s[46:47]                           // sgprs -> exec
_global_store_b128 v[140:141], v[144:147], off     // store D
s_mov_b64 exec, -1                                 // full mask -> exec
s_nop 0                                            // 1 wait state required when next inst writes vgprs held by previous dwordx4 store inst
/* optSingleColVgpr=0 optSharedColVgpr=0 optSGPRUsage=None optSrdIncForRow=0 */

/******************************************/
/* Global Write Alpha Edge Batch #1 (d1,d0,vc1,vc0) = */
/*    (0,1,0,0:vw1)                       */
/******************************************/

/* calc coords, apply mask, and issue loads (if necessary) */
/* (d1,vc1,d0,vc0)=(0,0,1,0) */
_v_add_co_u32 v134, vcc, v128, 64                  // coord0.1: coord0 += d0*sg0*VW + vc0
GLOBAL_OFFSET_D 140, 134, 129, sgprWorkGroup2, 136
v_mov_b32 v136, v140                               // temp store offset 0
v_mov_b32 v137, v141                               // temp store offset 1
v_cmp_lt_u32 s[42:43], v134, s[sgprSizesFree+0]    // coord0 < size0
v_cmp_lt_u32 s[44:45], v129, s[sgprSizesFree+1]    // coord1 < size1
s_and_b64 s[46:47], s[42:43], s[44:45]             // in0 && in1
_v_add_co_u32 v140, vcc, v130, v136                // addrVgpr = D + index*bytes (lo)
_v_addc_co_u32 v141, vcc, v131, v137, vcc          // addrVgpr = D + index*bytes (hi)

/* rC *= alpha batchElements=[(0, 1, 0, 0)] */
v_mul_f64 v[134:135], s[sgprAlpha+0:sgprAlpha+0+1], v[vgprValuC+8:vgprValuC+8+1] // 
v_mul_f64 v[136:137], s[sgprAlpha+2:sgprAlpha+2+1], v[vgprValuC+8:vgprValuC+8+1] // 
v_fma_f64 v[vgprValuC+144:vgprValuC+144+1], s[sgprAlpha+2:sgprAlpha+2+1], -v[vgprValuC+72:vgprValuC+72+1], v[134:135]
v_fma_f64 v[vgprValuC+144 +2:vgprValuC+144 +2+1], s[sgprAlpha+0:sgprAlpha+0+1], v[vgprValuC+72:vgprValuC+72+1], v[136:137]

/* apply mask, calc new C and issue writes */
s_mov_b64 exec, s[46:47]                           // sgprs -> exec
_global_store_b128 v[140:141], v[144:147], off     // store D
s_mov_b64 exec, -1                                 // full mask -> exec
s_nop 0                                            // 1 wait state required when next inst writes vgprs held by previous dwordx4 store inst
/* optSingleColVgpr=0 optSharedColVgpr=0 optSGPRUsage=None optSrdIncForRow=0 */

/******************************************/
/* Global Write Alpha Edge Batch #2 (d1,d0,vc1,vc0) = */
/*    (1,0,0,0:vw1)                       */
/******************************************/

/* calc coords, apply mask, and issue loads (if necessary) */
/* (d1,vc1,d0,vc0)=(1,0,0,0) */
_v_add_co_u32 v129, vcc, v129, 4                   // coord1.1: coord1Vgpr += d1*sg1*VW + vc1
GLOBAL_OFFSET_D 140, 128, 129, sgprWorkGroup2, 136
v_mov_b32 v136, v140                               // temp store offset 0
v_mov_b32 v137, v141                               // temp store offset 1
v_cmp_lt_u32 s[42:43], v128, s[sgprSizesFree+0]    // coord0 < size0
v_cmp_lt_u32 s[44:45], v129, s[sgprSizesFree+1]    // coord1 < size1
s_and_b64 s[46:47], s[42:43], s[44:45]             // in0 && in1
_v_add_co_u32 v140, vcc, v130, v136                // addrVgpr = D + index*bytes (lo)
_v_addc_co_u32 v141, vcc, v131, v137, vcc          // addrVgpr = D + index*bytes (hi)

/* rC *= alpha batchElements=[(1, 0, 0, 0)] */
v_mul_f64 v[134:135], s[sgprAlpha+0:sgprAlpha+0+1], v[vgprValuC+2:vgprValuC+2+1] // 
v_mul_f64 v[136:137], s[sgprAlpha+2:sgprAlpha+2+1], v[vgprValuC+2:vgprValuC+2+1] // 
v_fma_f64 v[vgprValuC+144:vgprValuC+144+1], s[sgprAlpha+2:sgprAlpha+2+1], -v[vgprValuC+66:vgprValuC+66+1], v[134:135]
v_fma_f64 v[vgprValuC+144 +2:vgprValuC+144 +2+1], s[sgprAlpha+0:sgprAlpha+0+1], v[vgprValuC+66:vgprValuC+66+1], v[136:137]

/* apply mask, calc new C and issue writes */
s_mov_b64 exec, s[46:47]                           // sgprs -> exec
_global_store_b128 v[140:141], v[144:147], off     // store D
s_mov_b64 exec, -1                                 // full mask -> exec
s_nop 0                                            // 1 wait state required when next inst writes vgprs held by previous dwordx4 store inst
/* optSingleColVgpr=0 optSharedColVgpr=0 optSGPRUsage=None optSrdIncForRow=0 */

/******************************************/
/* Global Write Alpha Edge Batch #3 (d1,d0,vc1,vc0) = */
/*    (1,1,0,0:vw1)                       */
/******************************************/

/* calc coords, apply mask, and issue loads (if necessary) */
/* (d1,vc1,d0,vc0)=(1,0,1,0) */
_v_add_co_u32 v134, vcc, v128, 64                  // coord0.1: coord0 += d0*sg0*VW + vc0
GLOBAL_OFFSET_D 140, 134, 129, sgprWorkGroup2, 136
v_mov_b32 v136, v140                               // temp store offset 0
v_mov_b32 v137, v141                               // temp store offset 1
v_cmp_lt_u32 s[42:43], v134, s[sgprSizesFree+0]    // coord0 < size0
v_cmp_lt_u32 s[44:45], v129, s[sgprSizesFree+1]    // coord1 < size1
s_and_b64 s[46:47], s[42:43], s[44:45]             // in0 && in1
_v_add_co_u32 v140, vcc, v130, v136                // addrVgpr = D + index*bytes (lo)
_v_addc_co_u32 v141, vcc, v131, v137, vcc          // addrVgpr = D + index*bytes (hi)

/* rC *= alpha batchElements=[(1, 1, 0, 0)] */
v_mul_f64 v[134:135], s[sgprAlpha+0:sgprAlpha+0+1], v[vgprValuC+10:vgprValuC+10+1] // 
v_mul_f64 v[136:137], s[sgprAlpha+2:sgprAlpha+2+1], v[vgprValuC+10:vgprValuC+10+1] // 
v_fma_f64 v[vgprValuC+144:vgprValuC+144+1], s[sgprAlpha+2:sgprAlpha+2+1], -v[vgprValuC+74:vgprValuC+74+1], v[134:135]
v_fma_f64 v[vgprValuC+144 +2:vgprValuC+144 +2+1], s[sgprAlpha+0:sgprAlpha+0+1], v[vgprValuC+74:vgprValuC+74+1], v[136:137]

/* apply mask, calc new C and issue writes */
s_mov_b64 exec, s[46:47]                           // sgprs -> exec
_global_store_b128 v[140:141], v[144:147], off     // store D
s_mov_b64 exec, -1                                 // full mask -> exec
s_nop 0                                            // 1 wait state required when next inst writes vgprs held by previous dwordx4 store inst
/* optSingleColVgpr=0 optSharedColVgpr=0 optSGPRUsage=None optSrdIncForRow=0 */

/******************************************/
/* Global Write Alpha Edge Batch #4 (d1,d0,vc1,vc0) = */
/*    (2,0,0,0:vw1)                       */
/******************************************/

/* calc coords, apply mask, and issue loads (if necessary) */
/* (d1,vc1,d0,vc0)=(2,0,0,0) */
_v_add_co_u32 v129, vcc, v129, 4                   // coord1.1: coord1Vgpr += d1*sg1*VW + vc1
	;; [unrolled: 60-line block ×9, first 2 shown]
GLOBAL_OFFSET_D 140, 128, 129, sgprWorkGroup2, 136
v_mov_b32 v136, v140                               // temp store offset 0
v_mov_b32 v137, v141                               // temp store offset 1
v_cmp_lt_u32 s[42:43], v128, s[sgprSizesFree+0]    // coord0 < size0
v_cmp_lt_u32 s[44:45], v129, s[sgprSizesFree+1]    // coord1 < size1
s_and_b64 s[46:47], s[42:43], s[44:45]             // in0 && in1
_v_add_co_u32 v140, vcc, v130, v136                // addrVgpr = D + index*bytes (lo)
_v_addc_co_u32 v141, vcc, v131, v137, vcc          // addrVgpr = D + index*bytes (hi)

/* rC *= alpha batchElements=[(9, 0, 0, 0)] */
v_mul_f64 v[134:135], s[sgprAlpha+0:sgprAlpha+0+1], v[vgprValuC+34:vgprValuC+34+1] // 
v_mul_f64 v[136:137], s[sgprAlpha+2:sgprAlpha+2+1], v[vgprValuC+34:vgprValuC+34+1] // 
v_fma_f64 v[vgprValuC+144:vgprValuC+144+1], s[sgprAlpha+2:sgprAlpha+2+1], -v[vgprValuC+98:vgprValuC+98+1], v[134:135]
v_fma_f64 v[vgprValuC+144 +2:vgprValuC+144 +2+1], s[sgprAlpha+0:sgprAlpha+0+1], v[vgprValuC+98:vgprValuC+98+1], v[136:137]

/* apply mask, calc new C and issue writes */
s_mov_b64 exec, s[46:47]                           // sgprs -> exec
_global_store_b128 v[140:141], v[144:147], off     // store D
s_mov_b64 exec, -1                                 // full mask -> exec
s_nop 0                                            // 1 wait state required when next inst writes vgprs held by previous dwordx4 store inst
/* optSingleColVgpr=0 optSharedColVgpr=0 optSGPRUsage=None optSrdIncForRow=0 */

/******************************************/
/* Global Write Alpha Edge Batch #19 (d1,d0,vc1,vc0) = */
/*    (9,1,0,0:vw1)                       */
/******************************************/

/* calc coords, apply mask, and issue loads (if necessary) */
/* (d1,vc1,d0,vc0)=(9,0,1,0) */
_v_add_co_u32 v134, vcc, v128, 64                  // coord0.1: coord0 += d0*sg0*VW + vc0
GLOBAL_OFFSET_D 140, 134, 129, sgprWorkGroup2, 136
v_mov_b32 v136, v140                               // temp store offset 0
v_mov_b32 v137, v141                               // temp store offset 1
v_cmp_lt_u32 s[42:43], v134, s[sgprSizesFree+0]    // coord0 < size0
v_cmp_lt_u32 s[44:45], v129, s[sgprSizesFree+1]    // coord1 < size1
s_and_b64 s[46:47], s[42:43], s[44:45]             // in0 && in1
_v_add_co_u32 v140, vcc, v130, v136                // addrVgpr = D + index*bytes (lo)
_v_addc_co_u32 v141, vcc, v131, v137, vcc          // addrVgpr = D + index*bytes (hi)

/* rC *= alpha batchElements=[(9, 1, 0, 0)] */
v_mul_f64 v[134:135], s[sgprAlpha+0:sgprAlpha+0+1], v[vgprValuC+42:vgprValuC+42+1] // 
v_mul_f64 v[136:137], s[sgprAlpha+2:sgprAlpha+2+1], v[vgprValuC+42:vgprValuC+42+1] // 
v_fma_f64 v[vgprValuC+144:vgprValuC+144+1], s[sgprAlpha+2:sgprAlpha+2+1], -v[vgprValuC+106:vgprValuC+106+1], v[134:135]
v_fma_f64 v[vgprValuC+144 +2:vgprValuC+144 +2+1], s[sgprAlpha+0:sgprAlpha+0+1], v[vgprValuC+106:vgprValuC+106+1], v[136:137]

/* apply mask, calc new C and issue writes */
s_mov_b64 exec, s[46:47]                           // sgprs -> exec
_global_store_b128 v[140:141], v[144:147], off     // store D
s_mov_b64 exec, -1                                 // full mask -> exec
s_nop 0                                            // 1 wait state required when next inst writes vgprs held by previous dwordx4 store inst
/* optSingleColVgpr=0 optSharedColVgpr=0 optSGPRUsage=None optSrdIncForRow=0 */

/******************************************/
/* Global Write Alpha Edge Batch #20 (d1,d0,vc1,vc0) = */
/*    (10,0,0,0:vw1)                      */
/******************************************/

/* calc coords, apply mask, and issue loads (if necessary) */
/* (d1,vc1,d0,vc0)=(10,0,0,0) */
_v_add_co_u32 v129, vcc, v129, 4                   // coord1.1: coord1Vgpr += d1*sg1*VW + vc1
GLOBAL_OFFSET_D 140, 128, 129, sgprWorkGroup2, 136
v_mov_b32 v136, v140                               // temp store offset 0
v_mov_b32 v137, v141                               // temp store offset 1
v_cmp_lt_u32 s[42:43], v128, s[sgprSizesFree+0]    // coord0 < size0
v_cmp_lt_u32 s[44:45], v129, s[sgprSizesFree+1]    // coord1 < size1
s_and_b64 s[46:47], s[42:43], s[44:45]             // in0 && in1
_v_add_co_u32 v140, vcc, v130, v136                // addrVgpr = D + index*bytes (lo)
_v_addc_co_u32 v141, vcc, v131, v137, vcc          // addrVgpr = D + index*bytes (hi)

/* rC *= alpha batchElements=[(10, 0, 0, 0)] */
v_mul_f64 v[134:135], s[sgprAlpha+0:sgprAlpha+0+1], v[vgprValuC+36:vgprValuC+36+1] // 
v_mul_f64 v[136:137], s[sgprAlpha+2:sgprAlpha+2+1], v[vgprValuC+36:vgprValuC+36+1] // 
v_fma_f64 v[vgprValuC+144:vgprValuC+144+1], s[sgprAlpha+2:sgprAlpha+2+1], -v[vgprValuC+100:vgprValuC+100+1], v[134:135]
v_fma_f64 v[vgprValuC+144 +2:vgprValuC+144 +2+1], s[sgprAlpha+0:sgprAlpha+0+1], v[vgprValuC+100:vgprValuC+100+1], v[136:137]

/* apply mask, calc new C and issue writes */
s_mov_b64 exec, s[46:47]                           // sgprs -> exec
_global_store_b128 v[140:141], v[144:147], off     // store D
s_mov_b64 exec, -1                                 // full mask -> exec
s_nop 0                                            // 1 wait state required when next inst writes vgprs held by previous dwordx4 store inst
/* optSingleColVgpr=0 optSharedColVgpr=0 optSGPRUsage=None optSrdIncForRow=0 */

/******************************************/
/* Global Write Alpha Edge Batch #21 (d1,d0,vc1,vc0) = */
/*    (10,1,0,0:vw1)                      */
/******************************************/

/* calc coords, apply mask, and issue loads (if necessary) */
/* (d1,vc1,d0,vc0)=(10,0,1,0) */
_v_add_co_u32 v134, vcc, v128, 64                  // coord0.1: coord0 += d0*sg0*VW + vc0
GLOBAL_OFFSET_D 140, 134, 129, sgprWorkGroup2, 136
v_mov_b32 v136, v140                               // temp store offset 0
v_mov_b32 v137, v141                               // temp store offset 1
v_cmp_lt_u32 s[42:43], v134, s[sgprSizesFree+0]    // coord0 < size0
v_cmp_lt_u32 s[44:45], v129, s[sgprSizesFree+1]    // coord1 < size1
s_and_b64 s[46:47], s[42:43], s[44:45]             // in0 && in1
_v_add_co_u32 v140, vcc, v130, v136                // addrVgpr = D + index*bytes (lo)
_v_addc_co_u32 v141, vcc, v131, v137, vcc          // addrVgpr = D + index*bytes (hi)

/* rC *= alpha batchElements=[(10, 1, 0, 0)] */
v_mul_f64 v[134:135], s[sgprAlpha+0:sgprAlpha+0+1], v[vgprValuC+44:vgprValuC+44+1] // 
v_mul_f64 v[136:137], s[sgprAlpha+2:sgprAlpha+2+1], v[vgprValuC+44:vgprValuC+44+1] // 
v_fma_f64 v[vgprValuC+144:vgprValuC+144+1], s[sgprAlpha+2:sgprAlpha+2+1], -v[vgprValuC+108:vgprValuC+108+1], v[134:135]
v_fma_f64 v[vgprValuC+144 +2:vgprValuC+144 +2+1], s[sgprAlpha+0:sgprAlpha+0+1], v[vgprValuC+108:vgprValuC+108+1], v[136:137]

/* apply mask, calc new C and issue writes */
s_mov_b64 exec, s[46:47]                           // sgprs -> exec
_global_store_b128 v[140:141], v[144:147], off     // store D
s_mov_b64 exec, -1                                 // full mask -> exec
s_nop 0                                            // 1 wait state required when next inst writes vgprs held by previous dwordx4 store inst
/* optSingleColVgpr=0 optSharedColVgpr=0 optSGPRUsage=None optSrdIncForRow=0 */

/******************************************/
/* Global Write Alpha Edge Batch #22 (d1,d0,vc1,vc0) = */
/*    (11,0,0,0:vw1)                      */
/******************************************/

/* calc coords, apply mask, and issue loads (if necessary) */
/* (d1,vc1,d0,vc0)=(11,0,0,0) */
_v_add_co_u32 v129, vcc, v129, 4                   // coord1.1: coord1Vgpr += d1*sg1*VW + vc1
GLOBAL_OFFSET_D 140, 128, 129, sgprWorkGroup2, 136
v_mov_b32 v136, v140                               // temp store offset 0
v_mov_b32 v137, v141                               // temp store offset 1
v_cmp_lt_u32 s[42:43], v128, s[sgprSizesFree+0]    // coord0 < size0
v_cmp_lt_u32 s[44:45], v129, s[sgprSizesFree+1]    // coord1 < size1
s_and_b64 s[46:47], s[42:43], s[44:45]             // in0 && in1
_v_add_co_u32 v140, vcc, v130, v136                // addrVgpr = D + index*bytes (lo)
_v_addc_co_u32 v141, vcc, v131, v137, vcc          // addrVgpr = D + index*bytes (hi)

/* rC *= alpha batchElements=[(11, 0, 0, 0)] */
v_mul_f64 v[134:135], s[sgprAlpha+0:sgprAlpha+0+1], v[vgprValuC+38:vgprValuC+38+1] // 
v_mul_f64 v[136:137], s[sgprAlpha+2:sgprAlpha+2+1], v[vgprValuC+38:vgprValuC+38+1] // 
v_fma_f64 v[vgprValuC+144:vgprValuC+144+1], s[sgprAlpha+2:sgprAlpha+2+1], -v[vgprValuC+102:vgprValuC+102+1], v[134:135]
v_fma_f64 v[vgprValuC+144 +2:vgprValuC+144 +2+1], s[sgprAlpha+0:sgprAlpha+0+1], v[vgprValuC+102:vgprValuC+102+1], v[136:137]

/* apply mask, calc new C and issue writes */
s_mov_b64 exec, s[46:47]                           // sgprs -> exec
_global_store_b128 v[140:141], v[144:147], off     // store D
s_mov_b64 exec, -1                                 // full mask -> exec
s_nop 0                                            // 1 wait state required when next inst writes vgprs held by previous dwordx4 store inst
/* optSingleColVgpr=0 optSharedColVgpr=0 optSGPRUsage=None optSrdIncForRow=0 */

/******************************************/
/* Global Write Alpha Edge Batch #23 (d1,d0,vc1,vc0) = */
/*    (11,1,0,0:vw1)                      */
	;; [unrolled: 60-line block ×6, first 2 shown]
/******************************************/

/* calc coords, apply mask, and issue loads (if necessary) */
/* (d1,vc1,d0,vc0)=(15,0,1,0) */
_v_add_co_u32 v134, vcc, v128, 64                  // coord0.1: coord0 += d0*sg0*VW + vc0
GLOBAL_OFFSET_D 140, 134, 129, sgprWorkGroup2, 136
v_mov_b32 v136, v140                               // temp store offset 0
v_mov_b32 v137, v141                               // temp store offset 1
v_cmp_lt_u32 s[42:43], v134, s[sgprSizesFree+0]    // coord0 < size0
v_cmp_lt_u32 s[44:45], v129, s[sgprSizesFree+1]    // coord1 < size1
s_and_b64 s[46:47], s[42:43], s[44:45]             // in0 && in1
_v_add_co_u32 v140, vcc, v130, v136                // addrVgpr = D + index*bytes (lo)
_v_addc_co_u32 v141, vcc, v131, v137, vcc          // addrVgpr = D + index*bytes (hi)

/* rC *= alpha batchElements=[(15, 1, 0, 0)] */
v_mul_f64 v[134:135], s[sgprAlpha+0:sgprAlpha+0+1], v[vgprValuC+62:vgprValuC+62+1] // 
v_mul_f64 v[136:137], s[sgprAlpha+2:sgprAlpha+2+1], v[vgprValuC+62:vgprValuC+62+1] // 
v_fma_f64 v[vgprValuC+144:vgprValuC+144+1], s[sgprAlpha+2:sgprAlpha+2+1], -v[vgprValuC+126:vgprValuC+126+1], v[134:135]
v_fma_f64 v[vgprValuC+144 +2:vgprValuC+144 +2+1], s[sgprAlpha+0:sgprAlpha+0+1], v[vgprValuC+126:vgprValuC+126+1], v[136:137]

/* apply mask, calc new C and issue writes */
s_mov_b64 exec, s[46:47]                           // sgprs -> exec
_global_store_b128 v[140:141], v[144:147], off     // store D
s_mov_b64 exec, -1                                 // full mask -> exec
s_nop 0                                            // 1 wait state required when next inst writes vgprs held by previous dwordx4 store inst
s_branch label_GW_End_37                           // jump to end
GW_Beta_38:
s_and_b32 s42, 127, s[sgprSizeI]                   // s42 = s[sgprSizeI] % 128
s_add_u32 s43, -0x1, s[sgprNumWorkGroups0]         // 
s_cmp_ge_u32 s[sgprWorkGroup0], s43                // wg0 >= nwg0-1 ?
s_cselect_b32 s42, s42, 0                          // set rMT0
s_cmpk_gt_u32 s42, 0x0                             // rMT0 > 0
s_cbranch_scc1 GW_B1_E1_36                         // jump if edges required
s_and_b32 s42, 63, s[sgprSizeJ]                    // s42 = s[sgprSizeJ] % 64
s_add_u32 s43, -0x1, s[sgprNumWorkGroups1]         // 
s_cmp_ge_u32 s[sgprWorkGroup1], s43                // wg1 >= nwg1-1
s_cselect_b32 s42, s42, 0                          // set rMT1
s_cmpk_gt_u32 s42, 0x0                             // rMT1 > 0
s_cbranch_scc1 GW_B1_E1_36                         // jump if edges required
GW_B1_E0_33:

/* edge=0, allocate 6 sgpr. perBatchTmpS=4 perBatchMaskS=0 perElementMaskS=2 elementsPerBatch=1 */
/* optSingleColVgpr=0 optSharedColVgpr=0 optSGPRUsage=None optSrdIncForRow=0 */

/******************************************/
/* Global Write Alpha Beta Batch #0 (d1,d0,vc1,vc0) = */
/*    (0,0,0,0:vw1)                       */
/******************************************/

/* calc coords, apply mask, and issue loads (if necessary) */
/* (d1,vc1,d0,vc0)=(0,0,0,0) */
GLOBAL_OFFSET_C 140, 128, 129, sgprWorkGroup2, 136
v_mov_b32 v136, v140                               // temp store offset 0
v_mov_b32 v137, v141                               // temp store offset 1
_v_add_co_u32 v140, vcc, v132, v136                // addrVgpr = C + index*bytes (lo)
_v_addc_co_u32 v141, vcc, v133, v137, vcc          // addrVgpr = C + index*bytes (hi)
_global_load_b128 v[144:147], v[140:141], off, offset:0 // load C for beta calc
GLOBAL_OFFSET_D 140, 128, 129, sgprWorkGroup2, 136
v_mov_b32 v136, v140                               // temp store offset 0
v_mov_b32 v137, v141                               // temp store offset 1
_v_add_co_u32 v140, vcc, v130, v136                // addrVgpr = D + index*bytes (lo)
_v_addc_co_u32 v141, vcc, v131, v137, vcc          // addrVgpr = D + index*bytes (hi)

/* rC *= alpha batchElements=[(0, 0, 0, 0)] */
v_mul_f64 v[134:135], s[sgprAlpha+0:sgprAlpha+0+1], v[vgprValuC+0:vgprValuC+0+1] // 
v_mul_f64 v[136:137], s[sgprAlpha+2:sgprAlpha+2+1], v[vgprValuC+0:vgprValuC+0+1] // 
v_fma_f64 v[vgprValuC+148:vgprValuC+148+1], s[sgprAlpha+2:sgprAlpha+2+1], -v[vgprValuC+64:vgprValuC+64+1], v[134:135]
v_fma_f64 v[vgprValuC+148 +2:vgprValuC+148 +2+1], s[sgprAlpha+0:sgprAlpha+0+1], v[vgprValuC+64:vgprValuC+64+1], v[136:137]
s_waitcnt vmcnt(0)                                 // wait C

/* apply mask, calc new C and issue writes */
v_fma_f64 v[vgprValuC+148:vgprValuC+148+1], v[144:145], s[sgprBeta+0:sgprBeta+0+1], v[vgprValuC+148:vgprValuC+148+1]
v_fma_f64 v[vgprValuC+148:vgprValuC+148+1], v[146:147], -s[sgprBeta+2:sgprBeta+2+1], v[vgprValuC+148:vgprValuC+148+1]
v_fma_f64 v[vgprValuC+150:vgprValuC+150+1], v[144:145], s[sgprBeta+2:sgprBeta+2+1], v[vgprValuC+150:vgprValuC+150+1]
v_fma_f64 v[vgprValuC+150:vgprValuC+150+1], v[146:147], s[sgprBeta+0:sgprBeta+0+1], v[vgprValuC+150:vgprValuC+150+1]
_global_store_b128 v[140:141], v[148:151], off     // store D
s_nop 0                                            // 1 wait state required when next inst writes vgprs held by previous dwordx4 store inst
/* optSingleColVgpr=0 optSharedColVgpr=0 optSGPRUsage=None optSrdIncForRow=0 */

/******************************************/
/* Global Write Alpha Beta Batch #1 (d1,d0,vc1,vc0) = */
/*    (0,1,0,0:vw1)                       */
/******************************************/

/* calc coords, apply mask, and issue loads (if necessary) */
/* (d1,vc1,d0,vc0)=(0,0,1,0) */
_v_add_co_u32 v134, vcc, v128, 64                  // coord0.1: coord0 += d0*sg0*VW + vc0
GLOBAL_OFFSET_C 140, 134, 129, sgprWorkGroup2, 136
v_mov_b32 v136, v140                               // temp store offset 0
v_mov_b32 v137, v141                               // temp store offset 1
_v_add_co_u32 v140, vcc, v132, v136                // addrVgpr = C + index*bytes (lo)
_v_addc_co_u32 v141, vcc, v133, v137, vcc          // addrVgpr = C + index*bytes (hi)
_global_load_b128 v[144:147], v[140:141], off, offset:0 // load C for beta calc
GLOBAL_OFFSET_D 140, 134, 129, sgprWorkGroup2, 136
v_mov_b32 v136, v140                               // temp store offset 0
v_mov_b32 v137, v141                               // temp store offset 1
_v_add_co_u32 v140, vcc, v130, v136                // addrVgpr = D + index*bytes (lo)
_v_addc_co_u32 v141, vcc, v131, v137, vcc          // addrVgpr = D + index*bytes (hi)

/* rC *= alpha batchElements=[(0, 1, 0, 0)] */
v_mul_f64 v[134:135], s[sgprAlpha+0:sgprAlpha+0+1], v[vgprValuC+8:vgprValuC+8+1] // 
v_mul_f64 v[136:137], s[sgprAlpha+2:sgprAlpha+2+1], v[vgprValuC+8:vgprValuC+8+1] // 
v_fma_f64 v[vgprValuC+148:vgprValuC+148+1], s[sgprAlpha+2:sgprAlpha+2+1], -v[vgprValuC+72:vgprValuC+72+1], v[134:135]
v_fma_f64 v[vgprValuC+148 +2:vgprValuC+148 +2+1], s[sgprAlpha+0:sgprAlpha+0+1], v[vgprValuC+72:vgprValuC+72+1], v[136:137]
s_waitcnt vmcnt(0)                                 // wait C

/* apply mask, calc new C and issue writes */
v_fma_f64 v[vgprValuC+148:vgprValuC+148+1], v[144:145], s[sgprBeta+0:sgprBeta+0+1], v[vgprValuC+148:vgprValuC+148+1]
v_fma_f64 v[vgprValuC+148:vgprValuC+148+1], v[146:147], -s[sgprBeta+2:sgprBeta+2+1], v[vgprValuC+148:vgprValuC+148+1]
v_fma_f64 v[vgprValuC+150:vgprValuC+150+1], v[144:145], s[sgprBeta+2:sgprBeta+2+1], v[vgprValuC+150:vgprValuC+150+1]
v_fma_f64 v[vgprValuC+150:vgprValuC+150+1], v[146:147], s[sgprBeta+0:sgprBeta+0+1], v[vgprValuC+150:vgprValuC+150+1]
_global_store_b128 v[140:141], v[148:151], off     // store D
s_nop 0                                            // 1 wait state required when next inst writes vgprs held by previous dwordx4 store inst
/* optSingleColVgpr=0 optSharedColVgpr=0 optSGPRUsage=None optSrdIncForRow=0 */

/******************************************/
/* Global Write Alpha Beta Batch #2 (d1,d0,vc1,vc0) = */
/*    (1,0,0,0:vw1)                       */
/******************************************/

/* calc coords, apply mask, and issue loads (if necessary) */
/* (d1,vc1,d0,vc0)=(1,0,0,0) */
_v_add_co_u32 v129, vcc, v129, 4                   // coord1.1: coord1Vgpr += d1*sg1*VW + vc1
GLOBAL_OFFSET_C 140, 128, 129, sgprWorkGroup2, 136
v_mov_b32 v136, v140                               // temp store offset 0
v_mov_b32 v137, v141                               // temp store offset 1
_v_add_co_u32 v140, vcc, v132, v136                // addrVgpr = C + index*bytes (lo)
_v_addc_co_u32 v141, vcc, v133, v137, vcc          // addrVgpr = C + index*bytes (hi)
_global_load_b128 v[144:147], v[140:141], off, offset:0 // load C for beta calc
GLOBAL_OFFSET_D 140, 128, 129, sgprWorkGroup2, 136
v_mov_b32 v136, v140                               // temp store offset 0
v_mov_b32 v137, v141                               // temp store offset 1
_v_add_co_u32 v140, vcc, v130, v136                // addrVgpr = D + index*bytes (lo)
_v_addc_co_u32 v141, vcc, v131, v137, vcc          // addrVgpr = D + index*bytes (hi)

/* rC *= alpha batchElements=[(1, 0, 0, 0)] */
v_mul_f64 v[134:135], s[sgprAlpha+0:sgprAlpha+0+1], v[vgprValuC+2:vgprValuC+2+1] // 
v_mul_f64 v[136:137], s[sgprAlpha+2:sgprAlpha+2+1], v[vgprValuC+2:vgprValuC+2+1] // 
v_fma_f64 v[vgprValuC+148:vgprValuC+148+1], s[sgprAlpha+2:sgprAlpha+2+1], -v[vgprValuC+66:vgprValuC+66+1], v[134:135]
v_fma_f64 v[vgprValuC+148 +2:vgprValuC+148 +2+1], s[sgprAlpha+0:sgprAlpha+0+1], v[vgprValuC+66:vgprValuC+66+1], v[136:137]
s_waitcnt vmcnt(0)                                 // wait C

/* apply mask, calc new C and issue writes */
v_fma_f64 v[vgprValuC+148:vgprValuC+148+1], v[144:145], s[sgprBeta+0:sgprBeta+0+1], v[vgprValuC+148:vgprValuC+148+1]
v_fma_f64 v[vgprValuC+148:vgprValuC+148+1], v[146:147], -s[sgprBeta+2:sgprBeta+2+1], v[vgprValuC+148:vgprValuC+148+1]
v_fma_f64 v[vgprValuC+150:vgprValuC+150+1], v[144:145], s[sgprBeta+2:sgprBeta+2+1], v[vgprValuC+150:vgprValuC+150+1]
v_fma_f64 v[vgprValuC+150:vgprValuC+150+1], v[146:147], s[sgprBeta+0:sgprBeta+0+1], v[vgprValuC+150:vgprValuC+150+1]
_global_store_b128 v[140:141], v[148:151], off     // store D
s_nop 0                                            // 1 wait state required when next inst writes vgprs held by previous dwordx4 store inst
/* optSingleColVgpr=0 optSharedColVgpr=0 optSGPRUsage=None optSrdIncForRow=0 */

/******************************************/
/* Global Write Alpha Beta Batch #3 (d1,d0,vc1,vc0) = */
/*    (1,1,0,0:vw1)                       */
/******************************************/

/* calc coords, apply mask, and issue loads (if necessary) */
/* (d1,vc1,d0,vc0)=(1,0,1,0) */
_v_add_co_u32 v134, vcc, v128, 64                  // coord0.1: coord0 += d0*sg0*VW + vc0
GLOBAL_OFFSET_C 140, 134, 129, sgprWorkGroup2, 136
v_mov_b32 v136, v140                               // temp store offset 0
v_mov_b32 v137, v141                               // temp store offset 1
_v_add_co_u32 v140, vcc, v132, v136                // addrVgpr = C + index*bytes (lo)
_v_addc_co_u32 v141, vcc, v133, v137, vcc          // addrVgpr = C + index*bytes (hi)
_global_load_b128 v[144:147], v[140:141], off, offset:0 // load C for beta calc
GLOBAL_OFFSET_D 140, 134, 129, sgprWorkGroup2, 136
v_mov_b32 v136, v140                               // temp store offset 0
v_mov_b32 v137, v141                               // temp store offset 1
_v_add_co_u32 v140, vcc, v130, v136                // addrVgpr = D + index*bytes (lo)
_v_addc_co_u32 v141, vcc, v131, v137, vcc          // addrVgpr = D + index*bytes (hi)

/* rC *= alpha batchElements=[(1, 1, 0, 0)] */
v_mul_f64 v[134:135], s[sgprAlpha+0:sgprAlpha+0+1], v[vgprValuC+10:vgprValuC+10+1] // 
v_mul_f64 v[136:137], s[sgprAlpha+2:sgprAlpha+2+1], v[vgprValuC+10:vgprValuC+10+1] // 
v_fma_f64 v[vgprValuC+148:vgprValuC+148+1], s[sgprAlpha+2:sgprAlpha+2+1], -v[vgprValuC+74:vgprValuC+74+1], v[134:135]
v_fma_f64 v[vgprValuC+148 +2:vgprValuC+148 +2+1], s[sgprAlpha+0:sgprAlpha+0+1], v[vgprValuC+74:vgprValuC+74+1], v[136:137]
s_waitcnt vmcnt(0)                                 // wait C

/* apply mask, calc new C and issue writes */
v_fma_f64 v[vgprValuC+148:vgprValuC+148+1], v[144:145], s[sgprBeta+0:sgprBeta+0+1], v[vgprValuC+148:vgprValuC+148+1]
v_fma_f64 v[vgprValuC+148:vgprValuC+148+1], v[146:147], -s[sgprBeta+2:sgprBeta+2+1], v[vgprValuC+148:vgprValuC+148+1]
v_fma_f64 v[vgprValuC+150:vgprValuC+150+1], v[144:145], s[sgprBeta+2:sgprBeta+2+1], v[vgprValuC+150:vgprValuC+150+1]
v_fma_f64 v[vgprValuC+150:vgprValuC+150+1], v[146:147], s[sgprBeta+0:sgprBeta+0+1], v[vgprValuC+150:vgprValuC+150+1]
_global_store_b128 v[140:141], v[148:151], off     // store D
s_nop 0                                            // 1 wait state required when next inst writes vgprs held by previous dwordx4 store inst
/* optSingleColVgpr=0 optSharedColVgpr=0 optSGPRUsage=None optSrdIncForRow=0 */

/******************************************/
/* Global Write Alpha Beta Batch #4 (d1,d0,vc1,vc0) = */
/*    (2,0,0,0:vw1)                       */
/******************************************/

/* calc coords, apply mask, and issue loads (if necessary) */
/* (d1,vc1,d0,vc0)=(2,0,0,0) */
_v_add_co_u32 v129, vcc, v129, 4                   // coord1.1: coord1Vgpr += d1*sg1*VW + vc1
GLOBAL_OFFSET_C 140, 128, 129, sgprWorkGroup2, 136
v_mov_b32 v136, v140                               // temp store offset 0
v_mov_b32 v137, v141                               // temp store offset 1
_v_add_co_u32 v140, vcc, v132, v136                // addrVgpr = C + index*bytes (lo)
_v_addc_co_u32 v141, vcc, v133, v137, vcc          // addrVgpr = C + index*bytes (hi)
_global_load_b128 v[144:147], v[140:141], off, offset:0 // load C for beta calc
GLOBAL_OFFSET_D 140, 128, 129, sgprWorkGroup2, 136
v_mov_b32 v136, v140                               // temp store offset 0
v_mov_b32 v137, v141                               // temp store offset 1
_v_add_co_u32 v140, vcc, v130, v136                // addrVgpr = D + index*bytes (lo)
_v_addc_co_u32 v141, vcc, v131, v137, vcc          // addrVgpr = D + index*bytes (hi)

/* rC *= alpha batchElements=[(2, 0, 0, 0)] */
v_mul_f64 v[134:135], s[sgprAlpha+0:sgprAlpha+0+1], v[vgprValuC+4:vgprValuC+4+1] // 
v_mul_f64 v[136:137], s[sgprAlpha+2:sgprAlpha+2+1], v[vgprValuC+4:vgprValuC+4+1] // 
v_fma_f64 v[vgprValuC+148:vgprValuC+148+1], s[sgprAlpha+2:sgprAlpha+2+1], -v[vgprValuC+68:vgprValuC+68+1], v[134:135]
v_fma_f64 v[vgprValuC+148 +2:vgprValuC+148 +2+1], s[sgprAlpha+0:sgprAlpha+0+1], v[vgprValuC+68:vgprValuC+68+1], v[136:137]
s_waitcnt vmcnt(0)                                 // wait C

/* apply mask, calc new C and issue writes */
v_fma_f64 v[vgprValuC+148:vgprValuC+148+1], v[144:145], s[sgprBeta+0:sgprBeta+0+1], v[vgprValuC+148:vgprValuC+148+1]
v_fma_f64 v[vgprValuC+148:vgprValuC+148+1], v[146:147], -s[sgprBeta+2:sgprBeta+2+1], v[vgprValuC+148:vgprValuC+148+1]
v_fma_f64 v[vgprValuC+150:vgprValuC+150+1], v[144:145], s[sgprBeta+2:sgprBeta+2+1], v[vgprValuC+150:vgprValuC+150+1]
v_fma_f64 v[vgprValuC+150:vgprValuC+150+1], v[146:147], s[sgprBeta+0:sgprBeta+0+1], v[vgprValuC+150:vgprValuC+150+1]
_global_store_b128 v[140:141], v[148:151], off     // store D
s_nop 0                                            // 1 wait state required when next inst writes vgprs held by previous dwordx4 store inst
/* optSingleColVgpr=0 optSharedColVgpr=0 optSGPRUsage=None optSrdIncForRow=0 */

/******************************************/
/* Global Write Alpha Beta Batch #5 (d1,d0,vc1,vc0) = */
/*    (2,1,0,0:vw1)                       */
/******************************************/

/* calc coords, apply mask, and issue loads (if necessary) */
/* (d1,vc1,d0,vc0)=(2,0,1,0) */
_v_add_co_u32 v134, vcc, v128, 64                  // coord0.1: coord0 += d0*sg0*VW + vc0
GLOBAL_OFFSET_C 140, 134, 129, sgprWorkGroup2, 136
v_mov_b32 v136, v140                               // temp store offset 0
v_mov_b32 v137, v141                               // temp store offset 1
_v_add_co_u32 v140, vcc, v132, v136                // addrVgpr = C + index*bytes (lo)
_v_addc_co_u32 v141, vcc, v133, v137, vcc          // addrVgpr = C + index*bytes (hi)
_global_load_b128 v[144:147], v[140:141], off, offset:0 // load C for beta calc
GLOBAL_OFFSET_D 140, 134, 129, sgprWorkGroup2, 136
v_mov_b32 v136, v140                               // temp store offset 0
v_mov_b32 v137, v141                               // temp store offset 1
_v_add_co_u32 v140, vcc, v130, v136                // addrVgpr = D + index*bytes (lo)
_v_addc_co_u32 v141, vcc, v131, v137, vcc          // addrVgpr = D + index*bytes (hi)

/* rC *= alpha batchElements=[(2, 1, 0, 0)] */
v_mul_f64 v[134:135], s[sgprAlpha+0:sgprAlpha+0+1], v[vgprValuC+12:vgprValuC+12+1] // 
v_mul_f64 v[136:137], s[sgprAlpha+2:sgprAlpha+2+1], v[vgprValuC+12:vgprValuC+12+1] // 
v_fma_f64 v[vgprValuC+148:vgprValuC+148+1], s[sgprAlpha+2:sgprAlpha+2+1], -v[vgprValuC+76:vgprValuC+76+1], v[134:135]
v_fma_f64 v[vgprValuC+148 +2:vgprValuC+148 +2+1], s[sgprAlpha+0:sgprAlpha+0+1], v[vgprValuC+76:vgprValuC+76+1], v[136:137]
s_waitcnt vmcnt(0)                                 // wait C

/* apply mask, calc new C and issue writes */
v_fma_f64 v[vgprValuC+148:vgprValuC+148+1], v[144:145], s[sgprBeta+0:sgprBeta+0+1], v[vgprValuC+148:vgprValuC+148+1]
v_fma_f64 v[vgprValuC+148:vgprValuC+148+1], v[146:147], -s[sgprBeta+2:sgprBeta+2+1], v[vgprValuC+148:vgprValuC+148+1]
v_fma_f64 v[vgprValuC+150:vgprValuC+150+1], v[144:145], s[sgprBeta+2:sgprBeta+2+1], v[vgprValuC+150:vgprValuC+150+1]
v_fma_f64 v[vgprValuC+150:vgprValuC+150+1], v[146:147], s[sgprBeta+0:sgprBeta+0+1], v[vgprValuC+150:vgprValuC+150+1]
_global_store_b128 v[140:141], v[148:151], off     // store D
s_nop 0                                            // 1 wait state required when next inst writes vgprs held by previous dwordx4 store inst
/* optSingleColVgpr=0 optSharedColVgpr=0 optSGPRUsage=None optSrdIncForRow=0 */

/******************************************/
/* Global Write Alpha Beta Batch #6 (d1,d0,vc1,vc0) = */
/*    (3,0,0,0:vw1)                       */
/******************************************/

/* calc coords, apply mask, and issue loads (if necessary) */
/* (d1,vc1,d0,vc0)=(3,0,0,0) */
_v_add_co_u32 v129, vcc, v129, 4                   // coord1.1: coord1Vgpr += d1*sg1*VW + vc1
GLOBAL_OFFSET_C 140, 128, 129, sgprWorkGroup2, 136
v_mov_b32 v136, v140                               // temp store offset 0
v_mov_b32 v137, v141                               // temp store offset 1
_v_add_co_u32 v140, vcc, v132, v136                // addrVgpr = C + index*bytes (lo)
_v_addc_co_u32 v141, vcc, v133, v137, vcc          // addrVgpr = C + index*bytes (hi)
_global_load_b128 v[144:147], v[140:141], off, offset:0 // load C for beta calc
GLOBAL_OFFSET_D 140, 128, 129, sgprWorkGroup2, 136
v_mov_b32 v136, v140                               // temp store offset 0
v_mov_b32 v137, v141                               // temp store offset 1
_v_add_co_u32 v140, vcc, v130, v136                // addrVgpr = D + index*bytes (lo)
_v_addc_co_u32 v141, vcc, v131, v137, vcc          // addrVgpr = D + index*bytes (hi)

/* rC *= alpha batchElements=[(3, 0, 0, 0)] */
v_mul_f64 v[134:135], s[sgprAlpha+0:sgprAlpha+0+1], v[vgprValuC+6:vgprValuC+6+1] // 
v_mul_f64 v[136:137], s[sgprAlpha+2:sgprAlpha+2+1], v[vgprValuC+6:vgprValuC+6+1] // 
v_fma_f64 v[vgprValuC+148:vgprValuC+148+1], s[sgprAlpha+2:sgprAlpha+2+1], -v[vgprValuC+70:vgprValuC+70+1], v[134:135]
v_fma_f64 v[vgprValuC+148 +2:vgprValuC+148 +2+1], s[sgprAlpha+0:sgprAlpha+0+1], v[vgprValuC+70:vgprValuC+70+1], v[136:137]
s_waitcnt vmcnt(0)                                 // wait C

/* apply mask, calc new C and issue writes */
v_fma_f64 v[vgprValuC+148:vgprValuC+148+1], v[144:145], s[sgprBeta+0:sgprBeta+0+1], v[vgprValuC+148:vgprValuC+148+1]
v_fma_f64 v[vgprValuC+148:vgprValuC+148+1], v[146:147], -s[sgprBeta+2:sgprBeta+2+1], v[vgprValuC+148:vgprValuC+148+1]
v_fma_f64 v[vgprValuC+150:vgprValuC+150+1], v[144:145], s[sgprBeta+2:sgprBeta+2+1], v[vgprValuC+150:vgprValuC+150+1]
v_fma_f64 v[vgprValuC+150:vgprValuC+150+1], v[146:147], s[sgprBeta+0:sgprBeta+0+1], v[vgprValuC+150:vgprValuC+150+1]
_global_store_b128 v[140:141], v[148:151], off     // store D
s_nop 0                                            // 1 wait state required when next inst writes vgprs held by previous dwordx4 store inst
/* optSingleColVgpr=0 optSharedColVgpr=0 optSGPRUsage=None optSrdIncForRow=0 */

/******************************************/
/* Global Write Alpha Beta Batch #7 (d1,d0,vc1,vc0) = */
/*    (3,1,0,0:vw1)                       */
/******************************************/

/* calc coords, apply mask, and issue loads (if necessary) */
/* (d1,vc1,d0,vc0)=(3,0,1,0) */
_v_add_co_u32 v134, vcc, v128, 64                  // coord0.1: coord0 += d0*sg0*VW + vc0
GLOBAL_OFFSET_C 140, 134, 129, sgprWorkGroup2, 136
v_mov_b32 v136, v140                               // temp store offset 0
v_mov_b32 v137, v141                               // temp store offset 1
_v_add_co_u32 v140, vcc, v132, v136                // addrVgpr = C + index*bytes (lo)
_v_addc_co_u32 v141, vcc, v133, v137, vcc          // addrVgpr = C + index*bytes (hi)
_global_load_b128 v[144:147], v[140:141], off, offset:0 // load C for beta calc
GLOBAL_OFFSET_D 140, 134, 129, sgprWorkGroup2, 136
v_mov_b32 v136, v140                               // temp store offset 0
v_mov_b32 v137, v141                               // temp store offset 1
_v_add_co_u32 v140, vcc, v130, v136                // addrVgpr = D + index*bytes (lo)
_v_addc_co_u32 v141, vcc, v131, v137, vcc          // addrVgpr = D + index*bytes (hi)

/* rC *= alpha batchElements=[(3, 1, 0, 0)] */
v_mul_f64 v[134:135], s[sgprAlpha+0:sgprAlpha+0+1], v[vgprValuC+14:vgprValuC+14+1] // 
v_mul_f64 v[136:137], s[sgprAlpha+2:sgprAlpha+2+1], v[vgprValuC+14:vgprValuC+14+1] // 
v_fma_f64 v[vgprValuC+148:vgprValuC+148+1], s[sgprAlpha+2:sgprAlpha+2+1], -v[vgprValuC+78:vgprValuC+78+1], v[134:135]
v_fma_f64 v[vgprValuC+148 +2:vgprValuC+148 +2+1], s[sgprAlpha+0:sgprAlpha+0+1], v[vgprValuC+78:vgprValuC+78+1], v[136:137]
s_waitcnt vmcnt(0)                                 // wait C

/* apply mask, calc new C and issue writes */
v_fma_f64 v[vgprValuC+148:vgprValuC+148+1], v[144:145], s[sgprBeta+0:sgprBeta+0+1], v[vgprValuC+148:vgprValuC+148+1]
v_fma_f64 v[vgprValuC+148:vgprValuC+148+1], v[146:147], -s[sgprBeta+2:sgprBeta+2+1], v[vgprValuC+148:vgprValuC+148+1]
v_fma_f64 v[vgprValuC+150:vgprValuC+150+1], v[144:145], s[sgprBeta+2:sgprBeta+2+1], v[vgprValuC+150:vgprValuC+150+1]
v_fma_f64 v[vgprValuC+150:vgprValuC+150+1], v[146:147], s[sgprBeta+0:sgprBeta+0+1], v[vgprValuC+150:vgprValuC+150+1]
_global_store_b128 v[140:141], v[148:151], off     // store D
s_nop 0                                            // 1 wait state required when next inst writes vgprs held by previous dwordx4 store inst
/* optSingleColVgpr=0 optSharedColVgpr=0 optSGPRUsage=None optSrdIncForRow=0 */

/******************************************/
/* Global Write Alpha Beta Batch #8 (d1,d0,vc1,vc0) = */
/*    (4,0,0,0:vw1)                       */
/******************************************/

/* calc coords, apply mask, and issue loads (if necessary) */
/* (d1,vc1,d0,vc0)=(4,0,0,0) */
_v_add_co_u32 v129, vcc, v129, 4                   // coord1.1: coord1Vgpr += d1*sg1*VW + vc1
GLOBAL_OFFSET_C 140, 128, 129, sgprWorkGroup2, 136
v_mov_b32 v136, v140                               // temp store offset 0
v_mov_b32 v137, v141                               // temp store offset 1
_v_add_co_u32 v140, vcc, v132, v136                // addrVgpr = C + index*bytes (lo)
_v_addc_co_u32 v141, vcc, v133, v137, vcc          // addrVgpr = C + index*bytes (hi)
_global_load_b128 v[144:147], v[140:141], off, offset:0 // load C for beta calc
GLOBAL_OFFSET_D 140, 128, 129, sgprWorkGroup2, 136
v_mov_b32 v136, v140                               // temp store offset 0
v_mov_b32 v137, v141                               // temp store offset 1
_v_add_co_u32 v140, vcc, v130, v136                // addrVgpr = D + index*bytes (lo)
_v_addc_co_u32 v141, vcc, v131, v137, vcc          // addrVgpr = D + index*bytes (hi)

/* rC *= alpha batchElements=[(4, 0, 0, 0)] */
v_mul_f64 v[134:135], s[sgprAlpha+0:sgprAlpha+0+1], v[vgprValuC+16:vgprValuC+16+1] // 
v_mul_f64 v[136:137], s[sgprAlpha+2:sgprAlpha+2+1], v[vgprValuC+16:vgprValuC+16+1] // 
v_fma_f64 v[vgprValuC+148:vgprValuC+148+1], s[sgprAlpha+2:sgprAlpha+2+1], -v[vgprValuC+80:vgprValuC+80+1], v[134:135]
v_fma_f64 v[vgprValuC+148 +2:vgprValuC+148 +2+1], s[sgprAlpha+0:sgprAlpha+0+1], v[vgprValuC+80:vgprValuC+80+1], v[136:137]
s_waitcnt vmcnt(0)                                 // wait C

/* apply mask, calc new C and issue writes */
v_fma_f64 v[vgprValuC+148:vgprValuC+148+1], v[144:145], s[sgprBeta+0:sgprBeta+0+1], v[vgprValuC+148:vgprValuC+148+1]
v_fma_f64 v[vgprValuC+148:vgprValuC+148+1], v[146:147], -s[sgprBeta+2:sgprBeta+2+1], v[vgprValuC+148:vgprValuC+148+1]
v_fma_f64 v[vgprValuC+150:vgprValuC+150+1], v[144:145], s[sgprBeta+2:sgprBeta+2+1], v[vgprValuC+150:vgprValuC+150+1]
v_fma_f64 v[vgprValuC+150:vgprValuC+150+1], v[146:147], s[sgprBeta+0:sgprBeta+0+1], v[vgprValuC+150:vgprValuC+150+1]
_global_store_b128 v[140:141], v[148:151], off     // store D
s_nop 0                                            // 1 wait state required when next inst writes vgprs held by previous dwordx4 store inst
/* optSingleColVgpr=0 optSharedColVgpr=0 optSGPRUsage=None optSrdIncForRow=0 */

/******************************************/
/* Global Write Alpha Beta Batch #9 (d1,d0,vc1,vc0) = */
/*    (4,1,0,0:vw1)                       */
/******************************************/

/* calc coords, apply mask, and issue loads (if necessary) */
/* (d1,vc1,d0,vc0)=(4,0,1,0) */
_v_add_co_u32 v134, vcc, v128, 64                  // coord0.1: coord0 += d0*sg0*VW + vc0
GLOBAL_OFFSET_C 140, 134, 129, sgprWorkGroup2, 136
v_mov_b32 v136, v140                               // temp store offset 0
v_mov_b32 v137, v141                               // temp store offset 1
_v_add_co_u32 v140, vcc, v132, v136                // addrVgpr = C + index*bytes (lo)
_v_addc_co_u32 v141, vcc, v133, v137, vcc          // addrVgpr = C + index*bytes (hi)
_global_load_b128 v[144:147], v[140:141], off, offset:0 // load C for beta calc
GLOBAL_OFFSET_D 140, 134, 129, sgprWorkGroup2, 136
v_mov_b32 v136, v140                               // temp store offset 0
v_mov_b32 v137, v141                               // temp store offset 1
_v_add_co_u32 v140, vcc, v130, v136                // addrVgpr = D + index*bytes (lo)
_v_addc_co_u32 v141, vcc, v131, v137, vcc          // addrVgpr = D + index*bytes (hi)

/* rC *= alpha batchElements=[(4, 1, 0, 0)] */
v_mul_f64 v[134:135], s[sgprAlpha+0:sgprAlpha+0+1], v[vgprValuC+24:vgprValuC+24+1] // 
v_mul_f64 v[136:137], s[sgprAlpha+2:sgprAlpha+2+1], v[vgprValuC+24:vgprValuC+24+1] // 
v_fma_f64 v[vgprValuC+148:vgprValuC+148+1], s[sgprAlpha+2:sgprAlpha+2+1], -v[vgprValuC+88:vgprValuC+88+1], v[134:135]
v_fma_f64 v[vgprValuC+148 +2:vgprValuC+148 +2+1], s[sgprAlpha+0:sgprAlpha+0+1], v[vgprValuC+88:vgprValuC+88+1], v[136:137]
s_waitcnt vmcnt(0)                                 // wait C

/* apply mask, calc new C and issue writes */
v_fma_f64 v[vgprValuC+148:vgprValuC+148+1], v[144:145], s[sgprBeta+0:sgprBeta+0+1], v[vgprValuC+148:vgprValuC+148+1]
v_fma_f64 v[vgprValuC+148:vgprValuC+148+1], v[146:147], -s[sgprBeta+2:sgprBeta+2+1], v[vgprValuC+148:vgprValuC+148+1]
v_fma_f64 v[vgprValuC+150:vgprValuC+150+1], v[144:145], s[sgprBeta+2:sgprBeta+2+1], v[vgprValuC+150:vgprValuC+150+1]
v_fma_f64 v[vgprValuC+150:vgprValuC+150+1], v[146:147], s[sgprBeta+0:sgprBeta+0+1], v[vgprValuC+150:vgprValuC+150+1]
_global_store_b128 v[140:141], v[148:151], off     // store D
s_nop 0                                            // 1 wait state required when next inst writes vgprs held by previous dwordx4 store inst
/* optSingleColVgpr=0 optSharedColVgpr=0 optSGPRUsage=None optSrdIncForRow=0 */

/******************************************/
/* Global Write Alpha Beta Batch #10 (d1,d0,vc1,vc0) = */
/*    (5,0,0,0:vw1)                       */
/******************************************/

/* calc coords, apply mask, and issue loads (if necessary) */
/* (d1,vc1,d0,vc0)=(5,0,0,0) */
_v_add_co_u32 v129, vcc, v129, 4                   // coord1.1: coord1Vgpr += d1*sg1*VW + vc1
GLOBAL_OFFSET_C 140, 128, 129, sgprWorkGroup2, 136
v_mov_b32 v136, v140                               // temp store offset 0
v_mov_b32 v137, v141                               // temp store offset 1
_v_add_co_u32 v140, vcc, v132, v136                // addrVgpr = C + index*bytes (lo)
_v_addc_co_u32 v141, vcc, v133, v137, vcc          // addrVgpr = C + index*bytes (hi)
_global_load_b128 v[144:147], v[140:141], off, offset:0 // load C for beta calc
GLOBAL_OFFSET_D 140, 128, 129, sgprWorkGroup2, 136
v_mov_b32 v136, v140                               // temp store offset 0
v_mov_b32 v137, v141                               // temp store offset 1
_v_add_co_u32 v140, vcc, v130, v136                // addrVgpr = D + index*bytes (lo)
_v_addc_co_u32 v141, vcc, v131, v137, vcc          // addrVgpr = D + index*bytes (hi)

/* rC *= alpha batchElements=[(5, 0, 0, 0)] */
v_mul_f64 v[134:135], s[sgprAlpha+0:sgprAlpha+0+1], v[vgprValuC+18:vgprValuC+18+1] // 
v_mul_f64 v[136:137], s[sgprAlpha+2:sgprAlpha+2+1], v[vgprValuC+18:vgprValuC+18+1] // 
v_fma_f64 v[vgprValuC+148:vgprValuC+148+1], s[sgprAlpha+2:sgprAlpha+2+1], -v[vgprValuC+82:vgprValuC+82+1], v[134:135]
v_fma_f64 v[vgprValuC+148 +2:vgprValuC+148 +2+1], s[sgprAlpha+0:sgprAlpha+0+1], v[vgprValuC+82:vgprValuC+82+1], v[136:137]
s_waitcnt vmcnt(0)                                 // wait C

/* apply mask, calc new C and issue writes */
v_fma_f64 v[vgprValuC+148:vgprValuC+148+1], v[144:145], s[sgprBeta+0:sgprBeta+0+1], v[vgprValuC+148:vgprValuC+148+1]
v_fma_f64 v[vgprValuC+148:vgprValuC+148+1], v[146:147], -s[sgprBeta+2:sgprBeta+2+1], v[vgprValuC+148:vgprValuC+148+1]
v_fma_f64 v[vgprValuC+150:vgprValuC+150+1], v[144:145], s[sgprBeta+2:sgprBeta+2+1], v[vgprValuC+150:vgprValuC+150+1]
v_fma_f64 v[vgprValuC+150:vgprValuC+150+1], v[146:147], s[sgprBeta+0:sgprBeta+0+1], v[vgprValuC+150:vgprValuC+150+1]
_global_store_b128 v[140:141], v[148:151], off     // store D
s_nop 0                                            // 1 wait state required when next inst writes vgprs held by previous dwordx4 store inst
/* optSingleColVgpr=0 optSharedColVgpr=0 optSGPRUsage=None optSrdIncForRow=0 */

/******************************************/
/* Global Write Alpha Beta Batch #11 (d1,d0,vc1,vc0) = */
/*    (5,1,0,0:vw1)                       */
/******************************************/

/* calc coords, apply mask, and issue loads (if necessary) */
/* (d1,vc1,d0,vc0)=(5,0,1,0) */
_v_add_co_u32 v134, vcc, v128, 64                  // coord0.1: coord0 += d0*sg0*VW + vc0
GLOBAL_OFFSET_C 140, 134, 129, sgprWorkGroup2, 136
v_mov_b32 v136, v140                               // temp store offset 0
v_mov_b32 v137, v141                               // temp store offset 1
_v_add_co_u32 v140, vcc, v132, v136                // addrVgpr = C + index*bytes (lo)
_v_addc_co_u32 v141, vcc, v133, v137, vcc          // addrVgpr = C + index*bytes (hi)
_global_load_b128 v[144:147], v[140:141], off, offset:0 // load C for beta calc
GLOBAL_OFFSET_D 140, 134, 129, sgprWorkGroup2, 136
v_mov_b32 v136, v140                               // temp store offset 0
v_mov_b32 v137, v141                               // temp store offset 1
_v_add_co_u32 v140, vcc, v130, v136                // addrVgpr = D + index*bytes (lo)
_v_addc_co_u32 v141, vcc, v131, v137, vcc          // addrVgpr = D + index*bytes (hi)

/* rC *= alpha batchElements=[(5, 1, 0, 0)] */
v_mul_f64 v[134:135], s[sgprAlpha+0:sgprAlpha+0+1], v[vgprValuC+26:vgprValuC+26+1] // 
v_mul_f64 v[136:137], s[sgprAlpha+2:sgprAlpha+2+1], v[vgprValuC+26:vgprValuC+26+1] // 
v_fma_f64 v[vgprValuC+148:vgprValuC+148+1], s[sgprAlpha+2:sgprAlpha+2+1], -v[vgprValuC+90:vgprValuC+90+1], v[134:135]
v_fma_f64 v[vgprValuC+148 +2:vgprValuC+148 +2+1], s[sgprAlpha+0:sgprAlpha+0+1], v[vgprValuC+90:vgprValuC+90+1], v[136:137]
s_waitcnt vmcnt(0)                                 // wait C

/* apply mask, calc new C and issue writes */
v_fma_f64 v[vgprValuC+148:vgprValuC+148+1], v[144:145], s[sgprBeta+0:sgprBeta+0+1], v[vgprValuC+148:vgprValuC+148+1]
v_fma_f64 v[vgprValuC+148:vgprValuC+148+1], v[146:147], -s[sgprBeta+2:sgprBeta+2+1], v[vgprValuC+148:vgprValuC+148+1]
v_fma_f64 v[vgprValuC+150:vgprValuC+150+1], v[144:145], s[sgprBeta+2:sgprBeta+2+1], v[vgprValuC+150:vgprValuC+150+1]
v_fma_f64 v[vgprValuC+150:vgprValuC+150+1], v[146:147], s[sgprBeta+0:sgprBeta+0+1], v[vgprValuC+150:vgprValuC+150+1]
_global_store_b128 v[140:141], v[148:151], off     // store D
s_nop 0                                            // 1 wait state required when next inst writes vgprs held by previous dwordx4 store inst
/* optSingleColVgpr=0 optSharedColVgpr=0 optSGPRUsage=None optSrdIncForRow=0 */

/******************************************/
/* Global Write Alpha Beta Batch #12 (d1,d0,vc1,vc0) = */
/*    (6,0,0,0:vw1)                       */
/******************************************/

/* calc coords, apply mask, and issue loads (if necessary) */
/* (d1,vc1,d0,vc0)=(6,0,0,0) */
_v_add_co_u32 v129, vcc, v129, 4                   // coord1.1: coord1Vgpr += d1*sg1*VW + vc1
GLOBAL_OFFSET_C 140, 128, 129, sgprWorkGroup2, 136
v_mov_b32 v136, v140                               // temp store offset 0
v_mov_b32 v137, v141                               // temp store offset 1
_v_add_co_u32 v140, vcc, v132, v136                // addrVgpr = C + index*bytes (lo)
_v_addc_co_u32 v141, vcc, v133, v137, vcc          // addrVgpr = C + index*bytes (hi)
_global_load_b128 v[144:147], v[140:141], off, offset:0 // load C for beta calc
GLOBAL_OFFSET_D 140, 128, 129, sgprWorkGroup2, 136
v_mov_b32 v136, v140                               // temp store offset 0
v_mov_b32 v137, v141                               // temp store offset 1
_v_add_co_u32 v140, vcc, v130, v136                // addrVgpr = D + index*bytes (lo)
_v_addc_co_u32 v141, vcc, v131, v137, vcc          // addrVgpr = D + index*bytes (hi)

/* rC *= alpha batchElements=[(6, 0, 0, 0)] */
v_mul_f64 v[134:135], s[sgprAlpha+0:sgprAlpha+0+1], v[vgprValuC+20:vgprValuC+20+1] // 
v_mul_f64 v[136:137], s[sgprAlpha+2:sgprAlpha+2+1], v[vgprValuC+20:vgprValuC+20+1] // 
v_fma_f64 v[vgprValuC+148:vgprValuC+148+1], s[sgprAlpha+2:sgprAlpha+2+1], -v[vgprValuC+84:vgprValuC+84+1], v[134:135]
v_fma_f64 v[vgprValuC+148 +2:vgprValuC+148 +2+1], s[sgprAlpha+0:sgprAlpha+0+1], v[vgprValuC+84:vgprValuC+84+1], v[136:137]
s_waitcnt vmcnt(0)                                 // wait C

/* apply mask, calc new C and issue writes */
v_fma_f64 v[vgprValuC+148:vgprValuC+148+1], v[144:145], s[sgprBeta+0:sgprBeta+0+1], v[vgprValuC+148:vgprValuC+148+1]
v_fma_f64 v[vgprValuC+148:vgprValuC+148+1], v[146:147], -s[sgprBeta+2:sgprBeta+2+1], v[vgprValuC+148:vgprValuC+148+1]
v_fma_f64 v[vgprValuC+150:vgprValuC+150+1], v[144:145], s[sgprBeta+2:sgprBeta+2+1], v[vgprValuC+150:vgprValuC+150+1]
v_fma_f64 v[vgprValuC+150:vgprValuC+150+1], v[146:147], s[sgprBeta+0:sgprBeta+0+1], v[vgprValuC+150:vgprValuC+150+1]
_global_store_b128 v[140:141], v[148:151], off     // store D
s_nop 0                                            // 1 wait state required when next inst writes vgprs held by previous dwordx4 store inst
/* optSingleColVgpr=0 optSharedColVgpr=0 optSGPRUsage=None optSrdIncForRow=0 */

/******************************************/
/* Global Write Alpha Beta Batch #13 (d1,d0,vc1,vc0) = */
/*    (6,1,0,0:vw1)                       */
/******************************************/

/* calc coords, apply mask, and issue loads (if necessary) */
/* (d1,vc1,d0,vc0)=(6,0,1,0) */
_v_add_co_u32 v134, vcc, v128, 64                  // coord0.1: coord0 += d0*sg0*VW + vc0
GLOBAL_OFFSET_C 140, 134, 129, sgprWorkGroup2, 136
v_mov_b32 v136, v140                               // temp store offset 0
v_mov_b32 v137, v141                               // temp store offset 1
_v_add_co_u32 v140, vcc, v132, v136                // addrVgpr = C + index*bytes (lo)
_v_addc_co_u32 v141, vcc, v133, v137, vcc          // addrVgpr = C + index*bytes (hi)
_global_load_b128 v[144:147], v[140:141], off, offset:0 // load C for beta calc
GLOBAL_OFFSET_D 140, 134, 129, sgprWorkGroup2, 136
v_mov_b32 v136, v140                               // temp store offset 0
v_mov_b32 v137, v141                               // temp store offset 1
_v_add_co_u32 v140, vcc, v130, v136                // addrVgpr = D + index*bytes (lo)
_v_addc_co_u32 v141, vcc, v131, v137, vcc          // addrVgpr = D + index*bytes (hi)

/* rC *= alpha batchElements=[(6, 1, 0, 0)] */
v_mul_f64 v[134:135], s[sgprAlpha+0:sgprAlpha+0+1], v[vgprValuC+28:vgprValuC+28+1] // 
v_mul_f64 v[136:137], s[sgprAlpha+2:sgprAlpha+2+1], v[vgprValuC+28:vgprValuC+28+1] // 
v_fma_f64 v[vgprValuC+148:vgprValuC+148+1], s[sgprAlpha+2:sgprAlpha+2+1], -v[vgprValuC+92:vgprValuC+92+1], v[134:135]
v_fma_f64 v[vgprValuC+148 +2:vgprValuC+148 +2+1], s[sgprAlpha+0:sgprAlpha+0+1], v[vgprValuC+92:vgprValuC+92+1], v[136:137]
s_waitcnt vmcnt(0)                                 // wait C

/* apply mask, calc new C and issue writes */
v_fma_f64 v[vgprValuC+148:vgprValuC+148+1], v[144:145], s[sgprBeta+0:sgprBeta+0+1], v[vgprValuC+148:vgprValuC+148+1]
v_fma_f64 v[vgprValuC+148:vgprValuC+148+1], v[146:147], -s[sgprBeta+2:sgprBeta+2+1], v[vgprValuC+148:vgprValuC+148+1]
v_fma_f64 v[vgprValuC+150:vgprValuC+150+1], v[144:145], s[sgprBeta+2:sgprBeta+2+1], v[vgprValuC+150:vgprValuC+150+1]
v_fma_f64 v[vgprValuC+150:vgprValuC+150+1], v[146:147], s[sgprBeta+0:sgprBeta+0+1], v[vgprValuC+150:vgprValuC+150+1]
_global_store_b128 v[140:141], v[148:151], off     // store D
s_nop 0                                            // 1 wait state required when next inst writes vgprs held by previous dwordx4 store inst
/* optSingleColVgpr=0 optSharedColVgpr=0 optSGPRUsage=None optSrdIncForRow=0 */

/******************************************/
/* Global Write Alpha Beta Batch #14 (d1,d0,vc1,vc0) = */
/*    (7,0,0,0:vw1)                       */
/******************************************/

/* calc coords, apply mask, and issue loads (if necessary) */
/* (d1,vc1,d0,vc0)=(7,0,0,0) */
_v_add_co_u32 v129, vcc, v129, 4                   // coord1.1: coord1Vgpr += d1*sg1*VW + vc1
GLOBAL_OFFSET_C 140, 128, 129, sgprWorkGroup2, 136
v_mov_b32 v136, v140                               // temp store offset 0
v_mov_b32 v137, v141                               // temp store offset 1
_v_add_co_u32 v140, vcc, v132, v136                // addrVgpr = C + index*bytes (lo)
_v_addc_co_u32 v141, vcc, v133, v137, vcc          // addrVgpr = C + index*bytes (hi)
_global_load_b128 v[144:147], v[140:141], off, offset:0 // load C for beta calc
GLOBAL_OFFSET_D 140, 128, 129, sgprWorkGroup2, 136
v_mov_b32 v136, v140                               // temp store offset 0
v_mov_b32 v137, v141                               // temp store offset 1
_v_add_co_u32 v140, vcc, v130, v136                // addrVgpr = D + index*bytes (lo)
_v_addc_co_u32 v141, vcc, v131, v137, vcc          // addrVgpr = D + index*bytes (hi)

/* rC *= alpha batchElements=[(7, 0, 0, 0)] */
v_mul_f64 v[134:135], s[sgprAlpha+0:sgprAlpha+0+1], v[vgprValuC+22:vgprValuC+22+1] // 
v_mul_f64 v[136:137], s[sgprAlpha+2:sgprAlpha+2+1], v[vgprValuC+22:vgprValuC+22+1] // 
v_fma_f64 v[vgprValuC+148:vgprValuC+148+1], s[sgprAlpha+2:sgprAlpha+2+1], -v[vgprValuC+86:vgprValuC+86+1], v[134:135]
v_fma_f64 v[vgprValuC+148 +2:vgprValuC+148 +2+1], s[sgprAlpha+0:sgprAlpha+0+1], v[vgprValuC+86:vgprValuC+86+1], v[136:137]
s_waitcnt vmcnt(0)                                 // wait C

/* apply mask, calc new C and issue writes */
v_fma_f64 v[vgprValuC+148:vgprValuC+148+1], v[144:145], s[sgprBeta+0:sgprBeta+0+1], v[vgprValuC+148:vgprValuC+148+1]
v_fma_f64 v[vgprValuC+148:vgprValuC+148+1], v[146:147], -s[sgprBeta+2:sgprBeta+2+1], v[vgprValuC+148:vgprValuC+148+1]
v_fma_f64 v[vgprValuC+150:vgprValuC+150+1], v[144:145], s[sgprBeta+2:sgprBeta+2+1], v[vgprValuC+150:vgprValuC+150+1]
v_fma_f64 v[vgprValuC+150:vgprValuC+150+1], v[146:147], s[sgprBeta+0:sgprBeta+0+1], v[vgprValuC+150:vgprValuC+150+1]
_global_store_b128 v[140:141], v[148:151], off     // store D
s_nop 0                                            // 1 wait state required when next inst writes vgprs held by previous dwordx4 store inst
/* optSingleColVgpr=0 optSharedColVgpr=0 optSGPRUsage=None optSrdIncForRow=0 */

/******************************************/
/* Global Write Alpha Beta Batch #15 (d1,d0,vc1,vc0) = */
/*    (7,1,0,0:vw1)                       */
/******************************************/

/* calc coords, apply mask, and issue loads (if necessary) */
/* (d1,vc1,d0,vc0)=(7,0,1,0) */
_v_add_co_u32 v134, vcc, v128, 64                  // coord0.1: coord0 += d0*sg0*VW + vc0
GLOBAL_OFFSET_C 140, 134, 129, sgprWorkGroup2, 136
v_mov_b32 v136, v140                               // temp store offset 0
v_mov_b32 v137, v141                               // temp store offset 1
_v_add_co_u32 v140, vcc, v132, v136                // addrVgpr = C + index*bytes (lo)
_v_addc_co_u32 v141, vcc, v133, v137, vcc          // addrVgpr = C + index*bytes (hi)
_global_load_b128 v[144:147], v[140:141], off, offset:0 // load C for beta calc
GLOBAL_OFFSET_D 140, 134, 129, sgprWorkGroup2, 136
v_mov_b32 v136, v140                               // temp store offset 0
v_mov_b32 v137, v141                               // temp store offset 1
_v_add_co_u32 v140, vcc, v130, v136                // addrVgpr = D + index*bytes (lo)
_v_addc_co_u32 v141, vcc, v131, v137, vcc          // addrVgpr = D + index*bytes (hi)

/* rC *= alpha batchElements=[(7, 1, 0, 0)] */
v_mul_f64 v[134:135], s[sgprAlpha+0:sgprAlpha+0+1], v[vgprValuC+30:vgprValuC+30+1] // 
v_mul_f64 v[136:137], s[sgprAlpha+2:sgprAlpha+2+1], v[vgprValuC+30:vgprValuC+30+1] // 
v_fma_f64 v[vgprValuC+148:vgprValuC+148+1], s[sgprAlpha+2:sgprAlpha+2+1], -v[vgprValuC+94:vgprValuC+94+1], v[134:135]
v_fma_f64 v[vgprValuC+148 +2:vgprValuC+148 +2+1], s[sgprAlpha+0:sgprAlpha+0+1], v[vgprValuC+94:vgprValuC+94+1], v[136:137]
s_waitcnt vmcnt(0)                                 // wait C

/* apply mask, calc new C and issue writes */
v_fma_f64 v[vgprValuC+148:vgprValuC+148+1], v[144:145], s[sgprBeta+0:sgprBeta+0+1], v[vgprValuC+148:vgprValuC+148+1]
v_fma_f64 v[vgprValuC+148:vgprValuC+148+1], v[146:147], -s[sgprBeta+2:sgprBeta+2+1], v[vgprValuC+148:vgprValuC+148+1]
v_fma_f64 v[vgprValuC+150:vgprValuC+150+1], v[144:145], s[sgprBeta+2:sgprBeta+2+1], v[vgprValuC+150:vgprValuC+150+1]
v_fma_f64 v[vgprValuC+150:vgprValuC+150+1], v[146:147], s[sgprBeta+0:sgprBeta+0+1], v[vgprValuC+150:vgprValuC+150+1]
_global_store_b128 v[140:141], v[148:151], off     // store D
s_nop 0                                            // 1 wait state required when next inst writes vgprs held by previous dwordx4 store inst
/* optSingleColVgpr=0 optSharedColVgpr=0 optSGPRUsage=None optSrdIncForRow=0 */

/******************************************/
/* Global Write Alpha Beta Batch #16 (d1,d0,vc1,vc0) = */
/*    (8,0,0,0:vw1)                       */
/******************************************/

/* calc coords, apply mask, and issue loads (if necessary) */
/* (d1,vc1,d0,vc0)=(8,0,0,0) */
_v_add_co_u32 v129, vcc, v129, 4                   // coord1.1: coord1Vgpr += d1*sg1*VW + vc1
GLOBAL_OFFSET_C 140, 128, 129, sgprWorkGroup2, 136
v_mov_b32 v136, v140                               // temp store offset 0
v_mov_b32 v137, v141                               // temp store offset 1
_v_add_co_u32 v140, vcc, v132, v136                // addrVgpr = C + index*bytes (lo)
_v_addc_co_u32 v141, vcc, v133, v137, vcc          // addrVgpr = C + index*bytes (hi)
_global_load_b128 v[144:147], v[140:141], off, offset:0 // load C for beta calc
GLOBAL_OFFSET_D 140, 128, 129, sgprWorkGroup2, 136
v_mov_b32 v136, v140                               // temp store offset 0
v_mov_b32 v137, v141                               // temp store offset 1
_v_add_co_u32 v140, vcc, v130, v136                // addrVgpr = D + index*bytes (lo)
_v_addc_co_u32 v141, vcc, v131, v137, vcc          // addrVgpr = D + index*bytes (hi)

/* rC *= alpha batchElements=[(8, 0, 0, 0)] */
v_mul_f64 v[134:135], s[sgprAlpha+0:sgprAlpha+0+1], v[vgprValuC+32:vgprValuC+32+1] // 
v_mul_f64 v[136:137], s[sgprAlpha+2:sgprAlpha+2+1], v[vgprValuC+32:vgprValuC+32+1] // 
v_fma_f64 v[vgprValuC+148:vgprValuC+148+1], s[sgprAlpha+2:sgprAlpha+2+1], -v[vgprValuC+96:vgprValuC+96+1], v[134:135]
v_fma_f64 v[vgprValuC+148 +2:vgprValuC+148 +2+1], s[sgprAlpha+0:sgprAlpha+0+1], v[vgprValuC+96:vgprValuC+96+1], v[136:137]
s_waitcnt vmcnt(0)                                 // wait C

/* apply mask, calc new C and issue writes */
v_fma_f64 v[vgprValuC+148:vgprValuC+148+1], v[144:145], s[sgprBeta+0:sgprBeta+0+1], v[vgprValuC+148:vgprValuC+148+1]
v_fma_f64 v[vgprValuC+148:vgprValuC+148+1], v[146:147], -s[sgprBeta+2:sgprBeta+2+1], v[vgprValuC+148:vgprValuC+148+1]
v_fma_f64 v[vgprValuC+150:vgprValuC+150+1], v[144:145], s[sgprBeta+2:sgprBeta+2+1], v[vgprValuC+150:vgprValuC+150+1]
v_fma_f64 v[vgprValuC+150:vgprValuC+150+1], v[146:147], s[sgprBeta+0:sgprBeta+0+1], v[vgprValuC+150:vgprValuC+150+1]
_global_store_b128 v[140:141], v[148:151], off     // store D
s_nop 0                                            // 1 wait state required when next inst writes vgprs held by previous dwordx4 store inst
/* optSingleColVgpr=0 optSharedColVgpr=0 optSGPRUsage=None optSrdIncForRow=0 */

/******************************************/
/* Global Write Alpha Beta Batch #17 (d1,d0,vc1,vc0) = */
/*    (8,1,0,0:vw1)                       */
/******************************************/

/* calc coords, apply mask, and issue loads (if necessary) */
/* (d1,vc1,d0,vc0)=(8,0,1,0) */
_v_add_co_u32 v134, vcc, v128, 64                  // coord0.1: coord0 += d0*sg0*VW + vc0
GLOBAL_OFFSET_C 140, 134, 129, sgprWorkGroup2, 136
v_mov_b32 v136, v140                               // temp store offset 0
v_mov_b32 v137, v141                               // temp store offset 1
_v_add_co_u32 v140, vcc, v132, v136                // addrVgpr = C + index*bytes (lo)
_v_addc_co_u32 v141, vcc, v133, v137, vcc          // addrVgpr = C + index*bytes (hi)
_global_load_b128 v[144:147], v[140:141], off, offset:0 // load C for beta calc
GLOBAL_OFFSET_D 140, 134, 129, sgprWorkGroup2, 136
v_mov_b32 v136, v140                               // temp store offset 0
v_mov_b32 v137, v141                               // temp store offset 1
_v_add_co_u32 v140, vcc, v130, v136                // addrVgpr = D + index*bytes (lo)
_v_addc_co_u32 v141, vcc, v131, v137, vcc          // addrVgpr = D + index*bytes (hi)

/* rC *= alpha batchElements=[(8, 1, 0, 0)] */
v_mul_f64 v[134:135], s[sgprAlpha+0:sgprAlpha+0+1], v[vgprValuC+40:vgprValuC+40+1] // 
v_mul_f64 v[136:137], s[sgprAlpha+2:sgprAlpha+2+1], v[vgprValuC+40:vgprValuC+40+1] // 
v_fma_f64 v[vgprValuC+148:vgprValuC+148+1], s[sgprAlpha+2:sgprAlpha+2+1], -v[vgprValuC+104:vgprValuC+104+1], v[134:135]
v_fma_f64 v[vgprValuC+148 +2:vgprValuC+148 +2+1], s[sgprAlpha+0:sgprAlpha+0+1], v[vgprValuC+104:vgprValuC+104+1], v[136:137]
s_waitcnt vmcnt(0)                                 // wait C

/* apply mask, calc new C and issue writes */
v_fma_f64 v[vgprValuC+148:vgprValuC+148+1], v[144:145], s[sgprBeta+0:sgprBeta+0+1], v[vgprValuC+148:vgprValuC+148+1]
v_fma_f64 v[vgprValuC+148:vgprValuC+148+1], v[146:147], -s[sgprBeta+2:sgprBeta+2+1], v[vgprValuC+148:vgprValuC+148+1]
v_fma_f64 v[vgprValuC+150:vgprValuC+150+1], v[144:145], s[sgprBeta+2:sgprBeta+2+1], v[vgprValuC+150:vgprValuC+150+1]
v_fma_f64 v[vgprValuC+150:vgprValuC+150+1], v[146:147], s[sgprBeta+0:sgprBeta+0+1], v[vgprValuC+150:vgprValuC+150+1]
_global_store_b128 v[140:141], v[148:151], off     // store D
s_nop 0                                            // 1 wait state required when next inst writes vgprs held by previous dwordx4 store inst
/* optSingleColVgpr=0 optSharedColVgpr=0 optSGPRUsage=None optSrdIncForRow=0 */

/******************************************/
/* Global Write Alpha Beta Batch #18 (d1,d0,vc1,vc0) = */
/*    (9,0,0,0:vw1)                       */
/******************************************/

/* calc coords, apply mask, and issue loads (if necessary) */
/* (d1,vc1,d0,vc0)=(9,0,0,0) */
_v_add_co_u32 v129, vcc, v129, 4                   // coord1.1: coord1Vgpr += d1*sg1*VW + vc1
GLOBAL_OFFSET_C 140, 128, 129, sgprWorkGroup2, 136
v_mov_b32 v136, v140                               // temp store offset 0
v_mov_b32 v137, v141                               // temp store offset 1
_v_add_co_u32 v140, vcc, v132, v136                // addrVgpr = C + index*bytes (lo)
_v_addc_co_u32 v141, vcc, v133, v137, vcc          // addrVgpr = C + index*bytes (hi)
_global_load_b128 v[144:147], v[140:141], off, offset:0 // load C for beta calc
GLOBAL_OFFSET_D 140, 128, 129, sgprWorkGroup2, 136
v_mov_b32 v136, v140                               // temp store offset 0
v_mov_b32 v137, v141                               // temp store offset 1
_v_add_co_u32 v140, vcc, v130, v136                // addrVgpr = D + index*bytes (lo)
_v_addc_co_u32 v141, vcc, v131, v137, vcc          // addrVgpr = D + index*bytes (hi)

/* rC *= alpha batchElements=[(9, 0, 0, 0)] */
v_mul_f64 v[134:135], s[sgprAlpha+0:sgprAlpha+0+1], v[vgprValuC+34:vgprValuC+34+1] // 
v_mul_f64 v[136:137], s[sgprAlpha+2:sgprAlpha+2+1], v[vgprValuC+34:vgprValuC+34+1] // 
v_fma_f64 v[vgprValuC+148:vgprValuC+148+1], s[sgprAlpha+2:sgprAlpha+2+1], -v[vgprValuC+98:vgprValuC+98+1], v[134:135]
v_fma_f64 v[vgprValuC+148 +2:vgprValuC+148 +2+1], s[sgprAlpha+0:sgprAlpha+0+1], v[vgprValuC+98:vgprValuC+98+1], v[136:137]
s_waitcnt vmcnt(0)                                 // wait C

/* apply mask, calc new C and issue writes */
v_fma_f64 v[vgprValuC+148:vgprValuC+148+1], v[144:145], s[sgprBeta+0:sgprBeta+0+1], v[vgprValuC+148:vgprValuC+148+1]
v_fma_f64 v[vgprValuC+148:vgprValuC+148+1], v[146:147], -s[sgprBeta+2:sgprBeta+2+1], v[vgprValuC+148:vgprValuC+148+1]
v_fma_f64 v[vgprValuC+150:vgprValuC+150+1], v[144:145], s[sgprBeta+2:sgprBeta+2+1], v[vgprValuC+150:vgprValuC+150+1]
v_fma_f64 v[vgprValuC+150:vgprValuC+150+1], v[146:147], s[sgprBeta+0:sgprBeta+0+1], v[vgprValuC+150:vgprValuC+150+1]
_global_store_b128 v[140:141], v[148:151], off     // store D
s_nop 0                                            // 1 wait state required when next inst writes vgprs held by previous dwordx4 store inst
/* optSingleColVgpr=0 optSharedColVgpr=0 optSGPRUsage=None optSrdIncForRow=0 */

/******************************************/
/* Global Write Alpha Beta Batch #19 (d1,d0,vc1,vc0) = */
/*    (9,1,0,0:vw1)                       */
/******************************************/

/* calc coords, apply mask, and issue loads (if necessary) */
/* (d1,vc1,d0,vc0)=(9,0,1,0) */
_v_add_co_u32 v134, vcc, v128, 64                  // coord0.1: coord0 += d0*sg0*VW + vc0
GLOBAL_OFFSET_C 140, 134, 129, sgprWorkGroup2, 136
v_mov_b32 v136, v140                               // temp store offset 0
v_mov_b32 v137, v141                               // temp store offset 1
_v_add_co_u32 v140, vcc, v132, v136                // addrVgpr = C + index*bytes (lo)
_v_addc_co_u32 v141, vcc, v133, v137, vcc          // addrVgpr = C + index*bytes (hi)
_global_load_b128 v[144:147], v[140:141], off, offset:0 // load C for beta calc
GLOBAL_OFFSET_D 140, 134, 129, sgprWorkGroup2, 136
v_mov_b32 v136, v140                               // temp store offset 0
v_mov_b32 v137, v141                               // temp store offset 1
_v_add_co_u32 v140, vcc, v130, v136                // addrVgpr = D + index*bytes (lo)
_v_addc_co_u32 v141, vcc, v131, v137, vcc          // addrVgpr = D + index*bytes (hi)

/* rC *= alpha batchElements=[(9, 1, 0, 0)] */
v_mul_f64 v[134:135], s[sgprAlpha+0:sgprAlpha+0+1], v[vgprValuC+42:vgprValuC+42+1] // 
v_mul_f64 v[136:137], s[sgprAlpha+2:sgprAlpha+2+1], v[vgprValuC+42:vgprValuC+42+1] // 
v_fma_f64 v[vgprValuC+148:vgprValuC+148+1], s[sgprAlpha+2:sgprAlpha+2+1], -v[vgprValuC+106:vgprValuC+106+1], v[134:135]
v_fma_f64 v[vgprValuC+148 +2:vgprValuC+148 +2+1], s[sgprAlpha+0:sgprAlpha+0+1], v[vgprValuC+106:vgprValuC+106+1], v[136:137]
s_waitcnt vmcnt(0)                                 // wait C

/* apply mask, calc new C and issue writes */
v_fma_f64 v[vgprValuC+148:vgprValuC+148+1], v[144:145], s[sgprBeta+0:sgprBeta+0+1], v[vgprValuC+148:vgprValuC+148+1]
v_fma_f64 v[vgprValuC+148:vgprValuC+148+1], v[146:147], -s[sgprBeta+2:sgprBeta+2+1], v[vgprValuC+148:vgprValuC+148+1]
v_fma_f64 v[vgprValuC+150:vgprValuC+150+1], v[144:145], s[sgprBeta+2:sgprBeta+2+1], v[vgprValuC+150:vgprValuC+150+1]
v_fma_f64 v[vgprValuC+150:vgprValuC+150+1], v[146:147], s[sgprBeta+0:sgprBeta+0+1], v[vgprValuC+150:vgprValuC+150+1]
_global_store_b128 v[140:141], v[148:151], off     // store D
s_nop 0                                            // 1 wait state required when next inst writes vgprs held by previous dwordx4 store inst
/* optSingleColVgpr=0 optSharedColVgpr=0 optSGPRUsage=None optSrdIncForRow=0 */

/******************************************/
/* Global Write Alpha Beta Batch #20 (d1,d0,vc1,vc0) = */
/*    (10,0,0,0:vw1)                      */
/******************************************/

/* calc coords, apply mask, and issue loads (if necessary) */
/* (d1,vc1,d0,vc0)=(10,0,0,0) */
_v_add_co_u32 v129, vcc, v129, 4                   // coord1.1: coord1Vgpr += d1*sg1*VW + vc1
GLOBAL_OFFSET_C 140, 128, 129, sgprWorkGroup2, 136
v_mov_b32 v136, v140                               // temp store offset 0
v_mov_b32 v137, v141                               // temp store offset 1
_v_add_co_u32 v140, vcc, v132, v136                // addrVgpr = C + index*bytes (lo)
_v_addc_co_u32 v141, vcc, v133, v137, vcc          // addrVgpr = C + index*bytes (hi)
_global_load_b128 v[144:147], v[140:141], off, offset:0 // load C for beta calc
GLOBAL_OFFSET_D 140, 128, 129, sgprWorkGroup2, 136
v_mov_b32 v136, v140                               // temp store offset 0
v_mov_b32 v137, v141                               // temp store offset 1
_v_add_co_u32 v140, vcc, v130, v136                // addrVgpr = D + index*bytes (lo)
_v_addc_co_u32 v141, vcc, v131, v137, vcc          // addrVgpr = D + index*bytes (hi)

/* rC *= alpha batchElements=[(10, 0, 0, 0)] */
v_mul_f64 v[134:135], s[sgprAlpha+0:sgprAlpha+0+1], v[vgprValuC+36:vgprValuC+36+1] // 
v_mul_f64 v[136:137], s[sgprAlpha+2:sgprAlpha+2+1], v[vgprValuC+36:vgprValuC+36+1] // 
v_fma_f64 v[vgprValuC+148:vgprValuC+148+1], s[sgprAlpha+2:sgprAlpha+2+1], -v[vgprValuC+100:vgprValuC+100+1], v[134:135]
v_fma_f64 v[vgprValuC+148 +2:vgprValuC+148 +2+1], s[sgprAlpha+0:sgprAlpha+0+1], v[vgprValuC+100:vgprValuC+100+1], v[136:137]
s_waitcnt vmcnt(0)                                 // wait C

/* apply mask, calc new C and issue writes */
v_fma_f64 v[vgprValuC+148:vgprValuC+148+1], v[144:145], s[sgprBeta+0:sgprBeta+0+1], v[vgprValuC+148:vgprValuC+148+1]
v_fma_f64 v[vgprValuC+148:vgprValuC+148+1], v[146:147], -s[sgprBeta+2:sgprBeta+2+1], v[vgprValuC+148:vgprValuC+148+1]
v_fma_f64 v[vgprValuC+150:vgprValuC+150+1], v[144:145], s[sgprBeta+2:sgprBeta+2+1], v[vgprValuC+150:vgprValuC+150+1]
v_fma_f64 v[vgprValuC+150:vgprValuC+150+1], v[146:147], s[sgprBeta+0:sgprBeta+0+1], v[vgprValuC+150:vgprValuC+150+1]
_global_store_b128 v[140:141], v[148:151], off     // store D
s_nop 0                                            // 1 wait state required when next inst writes vgprs held by previous dwordx4 store inst
/* optSingleColVgpr=0 optSharedColVgpr=0 optSGPRUsage=None optSrdIncForRow=0 */

/******************************************/
/* Global Write Alpha Beta Batch #21 (d1,d0,vc1,vc0) = */
/*    (10,1,0,0:vw1)                      */
/******************************************/

/* calc coords, apply mask, and issue loads (if necessary) */
/* (d1,vc1,d0,vc0)=(10,0,1,0) */
_v_add_co_u32 v134, vcc, v128, 64                  // coord0.1: coord0 += d0*sg0*VW + vc0
GLOBAL_OFFSET_C 140, 134, 129, sgprWorkGroup2, 136
v_mov_b32 v136, v140                               // temp store offset 0
v_mov_b32 v137, v141                               // temp store offset 1
_v_add_co_u32 v140, vcc, v132, v136                // addrVgpr = C + index*bytes (lo)
_v_addc_co_u32 v141, vcc, v133, v137, vcc          // addrVgpr = C + index*bytes (hi)
_global_load_b128 v[144:147], v[140:141], off, offset:0 // load C for beta calc
GLOBAL_OFFSET_D 140, 134, 129, sgprWorkGroup2, 136
v_mov_b32 v136, v140                               // temp store offset 0
v_mov_b32 v137, v141                               // temp store offset 1
_v_add_co_u32 v140, vcc, v130, v136                // addrVgpr = D + index*bytes (lo)
_v_addc_co_u32 v141, vcc, v131, v137, vcc          // addrVgpr = D + index*bytes (hi)

/* rC *= alpha batchElements=[(10, 1, 0, 0)] */
v_mul_f64 v[134:135], s[sgprAlpha+0:sgprAlpha+0+1], v[vgprValuC+44:vgprValuC+44+1] // 
v_mul_f64 v[136:137], s[sgprAlpha+2:sgprAlpha+2+1], v[vgprValuC+44:vgprValuC+44+1] // 
v_fma_f64 v[vgprValuC+148:vgprValuC+148+1], s[sgprAlpha+2:sgprAlpha+2+1], -v[vgprValuC+108:vgprValuC+108+1], v[134:135]
v_fma_f64 v[vgprValuC+148 +2:vgprValuC+148 +2+1], s[sgprAlpha+0:sgprAlpha+0+1], v[vgprValuC+108:vgprValuC+108+1], v[136:137]
s_waitcnt vmcnt(0)                                 // wait C

/* apply mask, calc new C and issue writes */
v_fma_f64 v[vgprValuC+148:vgprValuC+148+1], v[144:145], s[sgprBeta+0:sgprBeta+0+1], v[vgprValuC+148:vgprValuC+148+1]
v_fma_f64 v[vgprValuC+148:vgprValuC+148+1], v[146:147], -s[sgprBeta+2:sgprBeta+2+1], v[vgprValuC+148:vgprValuC+148+1]
v_fma_f64 v[vgprValuC+150:vgprValuC+150+1], v[144:145], s[sgprBeta+2:sgprBeta+2+1], v[vgprValuC+150:vgprValuC+150+1]
v_fma_f64 v[vgprValuC+150:vgprValuC+150+1], v[146:147], s[sgprBeta+0:sgprBeta+0+1], v[vgprValuC+150:vgprValuC+150+1]
_global_store_b128 v[140:141], v[148:151], off     // store D
s_nop 0                                            // 1 wait state required when next inst writes vgprs held by previous dwordx4 store inst
/* optSingleColVgpr=0 optSharedColVgpr=0 optSGPRUsage=None optSrdIncForRow=0 */

/******************************************/
/* Global Write Alpha Beta Batch #22 (d1,d0,vc1,vc0) = */
/*    (11,0,0,0:vw1)                      */
/******************************************/

/* calc coords, apply mask, and issue loads (if necessary) */
/* (d1,vc1,d0,vc0)=(11,0,0,0) */
_v_add_co_u32 v129, vcc, v129, 4                   // coord1.1: coord1Vgpr += d1*sg1*VW + vc1
GLOBAL_OFFSET_C 140, 128, 129, sgprWorkGroup2, 136
v_mov_b32 v136, v140                               // temp store offset 0
v_mov_b32 v137, v141                               // temp store offset 1
_v_add_co_u32 v140, vcc, v132, v136                // addrVgpr = C + index*bytes (lo)
_v_addc_co_u32 v141, vcc, v133, v137, vcc          // addrVgpr = C + index*bytes (hi)
_global_load_b128 v[144:147], v[140:141], off, offset:0 // load C for beta calc
GLOBAL_OFFSET_D 140, 128, 129, sgprWorkGroup2, 136
v_mov_b32 v136, v140                               // temp store offset 0
v_mov_b32 v137, v141                               // temp store offset 1
_v_add_co_u32 v140, vcc, v130, v136                // addrVgpr = D + index*bytes (lo)
_v_addc_co_u32 v141, vcc, v131, v137, vcc          // addrVgpr = D + index*bytes (hi)

/* rC *= alpha batchElements=[(11, 0, 0, 0)] */
v_mul_f64 v[134:135], s[sgprAlpha+0:sgprAlpha+0+1], v[vgprValuC+38:vgprValuC+38+1] // 
v_mul_f64 v[136:137], s[sgprAlpha+2:sgprAlpha+2+1], v[vgprValuC+38:vgprValuC+38+1] // 
v_fma_f64 v[vgprValuC+148:vgprValuC+148+1], s[sgprAlpha+2:sgprAlpha+2+1], -v[vgprValuC+102:vgprValuC+102+1], v[134:135]
v_fma_f64 v[vgprValuC+148 +2:vgprValuC+148 +2+1], s[sgprAlpha+0:sgprAlpha+0+1], v[vgprValuC+102:vgprValuC+102+1], v[136:137]
s_waitcnt vmcnt(0)                                 // wait C

/* apply mask, calc new C and issue writes */
v_fma_f64 v[vgprValuC+148:vgprValuC+148+1], v[144:145], s[sgprBeta+0:sgprBeta+0+1], v[vgprValuC+148:vgprValuC+148+1]
v_fma_f64 v[vgprValuC+148:vgprValuC+148+1], v[146:147], -s[sgprBeta+2:sgprBeta+2+1], v[vgprValuC+148:vgprValuC+148+1]
v_fma_f64 v[vgprValuC+150:vgprValuC+150+1], v[144:145], s[sgprBeta+2:sgprBeta+2+1], v[vgprValuC+150:vgprValuC+150+1]
v_fma_f64 v[vgprValuC+150:vgprValuC+150+1], v[146:147], s[sgprBeta+0:sgprBeta+0+1], v[vgprValuC+150:vgprValuC+150+1]
_global_store_b128 v[140:141], v[148:151], off     // store D
s_nop 0                                            // 1 wait state required when next inst writes vgprs held by previous dwordx4 store inst
/* optSingleColVgpr=0 optSharedColVgpr=0 optSGPRUsage=None optSrdIncForRow=0 */

/******************************************/
/* Global Write Alpha Beta Batch #23 (d1,d0,vc1,vc0) = */
/*    (11,1,0,0:vw1)                      */
/******************************************/

/* calc coords, apply mask, and issue loads (if necessary) */
/* (d1,vc1,d0,vc0)=(11,0,1,0) */
_v_add_co_u32 v134, vcc, v128, 64                  // coord0.1: coord0 += d0*sg0*VW + vc0
GLOBAL_OFFSET_C 140, 134, 129, sgprWorkGroup2, 136
v_mov_b32 v136, v140                               // temp store offset 0
v_mov_b32 v137, v141                               // temp store offset 1
_v_add_co_u32 v140, vcc, v132, v136                // addrVgpr = C + index*bytes (lo)
_v_addc_co_u32 v141, vcc, v133, v137, vcc          // addrVgpr = C + index*bytes (hi)
_global_load_b128 v[144:147], v[140:141], off, offset:0 // load C for beta calc
GLOBAL_OFFSET_D 140, 134, 129, sgprWorkGroup2, 136
v_mov_b32 v136, v140                               // temp store offset 0
v_mov_b32 v137, v141                               // temp store offset 1
_v_add_co_u32 v140, vcc, v130, v136                // addrVgpr = D + index*bytes (lo)
_v_addc_co_u32 v141, vcc, v131, v137, vcc          // addrVgpr = D + index*bytes (hi)

/* rC *= alpha batchElements=[(11, 1, 0, 0)] */
v_mul_f64 v[134:135], s[sgprAlpha+0:sgprAlpha+0+1], v[vgprValuC+46:vgprValuC+46+1] // 
v_mul_f64 v[136:137], s[sgprAlpha+2:sgprAlpha+2+1], v[vgprValuC+46:vgprValuC+46+1] // 
v_fma_f64 v[vgprValuC+148:vgprValuC+148+1], s[sgprAlpha+2:sgprAlpha+2+1], -v[vgprValuC+110:vgprValuC+110+1], v[134:135]
v_fma_f64 v[vgprValuC+148 +2:vgprValuC+148 +2+1], s[sgprAlpha+0:sgprAlpha+0+1], v[vgprValuC+110:vgprValuC+110+1], v[136:137]
s_waitcnt vmcnt(0)                                 // wait C

/* apply mask, calc new C and issue writes */
v_fma_f64 v[vgprValuC+148:vgprValuC+148+1], v[144:145], s[sgprBeta+0:sgprBeta+0+1], v[vgprValuC+148:vgprValuC+148+1]
v_fma_f64 v[vgprValuC+148:vgprValuC+148+1], v[146:147], -s[sgprBeta+2:sgprBeta+2+1], v[vgprValuC+148:vgprValuC+148+1]
v_fma_f64 v[vgprValuC+150:vgprValuC+150+1], v[144:145], s[sgprBeta+2:sgprBeta+2+1], v[vgprValuC+150:vgprValuC+150+1]
v_fma_f64 v[vgprValuC+150:vgprValuC+150+1], v[146:147], s[sgprBeta+0:sgprBeta+0+1], v[vgprValuC+150:vgprValuC+150+1]
_global_store_b128 v[140:141], v[148:151], off     // store D
s_nop 0                                            // 1 wait state required when next inst writes vgprs held by previous dwordx4 store inst
/* optSingleColVgpr=0 optSharedColVgpr=0 optSGPRUsage=None optSrdIncForRow=0 */

/******************************************/
/* Global Write Alpha Beta Batch #24 (d1,d0,vc1,vc0) = */
/*    (12,0,0,0:vw1)                      */
/******************************************/

/* calc coords, apply mask, and issue loads (if necessary) */
/* (d1,vc1,d0,vc0)=(12,0,0,0) */
_v_add_co_u32 v129, vcc, v129, 4                   // coord1.1: coord1Vgpr += d1*sg1*VW + vc1
GLOBAL_OFFSET_C 140, 128, 129, sgprWorkGroup2, 136
v_mov_b32 v136, v140                               // temp store offset 0
v_mov_b32 v137, v141                               // temp store offset 1
_v_add_co_u32 v140, vcc, v132, v136                // addrVgpr = C + index*bytes (lo)
_v_addc_co_u32 v141, vcc, v133, v137, vcc          // addrVgpr = C + index*bytes (hi)
_global_load_b128 v[144:147], v[140:141], off, offset:0 // load C for beta calc
GLOBAL_OFFSET_D 140, 128, 129, sgprWorkGroup2, 136
v_mov_b32 v136, v140                               // temp store offset 0
v_mov_b32 v137, v141                               // temp store offset 1
_v_add_co_u32 v140, vcc, v130, v136                // addrVgpr = D + index*bytes (lo)
_v_addc_co_u32 v141, vcc, v131, v137, vcc          // addrVgpr = D + index*bytes (hi)

/* rC *= alpha batchElements=[(12, 0, 0, 0)] */
v_mul_f64 v[134:135], s[sgprAlpha+0:sgprAlpha+0+1], v[vgprValuC+48:vgprValuC+48+1] // 
v_mul_f64 v[136:137], s[sgprAlpha+2:sgprAlpha+2+1], v[vgprValuC+48:vgprValuC+48+1] // 
v_fma_f64 v[vgprValuC+148:vgprValuC+148+1], s[sgprAlpha+2:sgprAlpha+2+1], -v[vgprValuC+112:vgprValuC+112+1], v[134:135]
v_fma_f64 v[vgprValuC+148 +2:vgprValuC+148 +2+1], s[sgprAlpha+0:sgprAlpha+0+1], v[vgprValuC+112:vgprValuC+112+1], v[136:137]
s_waitcnt vmcnt(0)                                 // wait C

/* apply mask, calc new C and issue writes */
v_fma_f64 v[vgprValuC+148:vgprValuC+148+1], v[144:145], s[sgprBeta+0:sgprBeta+0+1], v[vgprValuC+148:vgprValuC+148+1]
v_fma_f64 v[vgprValuC+148:vgprValuC+148+1], v[146:147], -s[sgprBeta+2:sgprBeta+2+1], v[vgprValuC+148:vgprValuC+148+1]
v_fma_f64 v[vgprValuC+150:vgprValuC+150+1], v[144:145], s[sgprBeta+2:sgprBeta+2+1], v[vgprValuC+150:vgprValuC+150+1]
v_fma_f64 v[vgprValuC+150:vgprValuC+150+1], v[146:147], s[sgprBeta+0:sgprBeta+0+1], v[vgprValuC+150:vgprValuC+150+1]
_global_store_b128 v[140:141], v[148:151], off     // store D
s_nop 0                                            // 1 wait state required when next inst writes vgprs held by previous dwordx4 store inst
/* optSingleColVgpr=0 optSharedColVgpr=0 optSGPRUsage=None optSrdIncForRow=0 */

/******************************************/
/* Global Write Alpha Beta Batch #25 (d1,d0,vc1,vc0) = */
/*    (12,1,0,0:vw1)                      */
/******************************************/

/* calc coords, apply mask, and issue loads (if necessary) */
/* (d1,vc1,d0,vc0)=(12,0,1,0) */
_v_add_co_u32 v134, vcc, v128, 64                  // coord0.1: coord0 += d0*sg0*VW + vc0
GLOBAL_OFFSET_C 140, 134, 129, sgprWorkGroup2, 136
v_mov_b32 v136, v140                               // temp store offset 0
v_mov_b32 v137, v141                               // temp store offset 1
_v_add_co_u32 v140, vcc, v132, v136                // addrVgpr = C + index*bytes (lo)
_v_addc_co_u32 v141, vcc, v133, v137, vcc          // addrVgpr = C + index*bytes (hi)
_global_load_b128 v[144:147], v[140:141], off, offset:0 // load C for beta calc
GLOBAL_OFFSET_D 140, 134, 129, sgprWorkGroup2, 136
v_mov_b32 v136, v140                               // temp store offset 0
v_mov_b32 v137, v141                               // temp store offset 1
_v_add_co_u32 v140, vcc, v130, v136                // addrVgpr = D + index*bytes (lo)
_v_addc_co_u32 v141, vcc, v131, v137, vcc          // addrVgpr = D + index*bytes (hi)

/* rC *= alpha batchElements=[(12, 1, 0, 0)] */
v_mul_f64 v[134:135], s[sgprAlpha+0:sgprAlpha+0+1], v[vgprValuC+56:vgprValuC+56+1] // 
v_mul_f64 v[136:137], s[sgprAlpha+2:sgprAlpha+2+1], v[vgprValuC+56:vgprValuC+56+1] // 
v_fma_f64 v[vgprValuC+148:vgprValuC+148+1], s[sgprAlpha+2:sgprAlpha+2+1], -v[vgprValuC+120:vgprValuC+120+1], v[134:135]
v_fma_f64 v[vgprValuC+148 +2:vgprValuC+148 +2+1], s[sgprAlpha+0:sgprAlpha+0+1], v[vgprValuC+120:vgprValuC+120+1], v[136:137]
s_waitcnt vmcnt(0)                                 // wait C

/* apply mask, calc new C and issue writes */
v_fma_f64 v[vgprValuC+148:vgprValuC+148+1], v[144:145], s[sgprBeta+0:sgprBeta+0+1], v[vgprValuC+148:vgprValuC+148+1]
v_fma_f64 v[vgprValuC+148:vgprValuC+148+1], v[146:147], -s[sgprBeta+2:sgprBeta+2+1], v[vgprValuC+148:vgprValuC+148+1]
v_fma_f64 v[vgprValuC+150:vgprValuC+150+1], v[144:145], s[sgprBeta+2:sgprBeta+2+1], v[vgprValuC+150:vgprValuC+150+1]
v_fma_f64 v[vgprValuC+150:vgprValuC+150+1], v[146:147], s[sgprBeta+0:sgprBeta+0+1], v[vgprValuC+150:vgprValuC+150+1]
_global_store_b128 v[140:141], v[148:151], off     // store D
s_nop 0                                            // 1 wait state required when next inst writes vgprs held by previous dwordx4 store inst
/* optSingleColVgpr=0 optSharedColVgpr=0 optSGPRUsage=None optSrdIncForRow=0 */

/******************************************/
/* Global Write Alpha Beta Batch #26 (d1,d0,vc1,vc0) = */
/*    (13,0,0,0:vw1)                      */
/******************************************/

/* calc coords, apply mask, and issue loads (if necessary) */
/* (d1,vc1,d0,vc0)=(13,0,0,0) */
_v_add_co_u32 v129, vcc, v129, 4                   // coord1.1: coord1Vgpr += d1*sg1*VW + vc1
GLOBAL_OFFSET_C 140, 128, 129, sgprWorkGroup2, 136
v_mov_b32 v136, v140                               // temp store offset 0
v_mov_b32 v137, v141                               // temp store offset 1
_v_add_co_u32 v140, vcc, v132, v136                // addrVgpr = C + index*bytes (lo)
_v_addc_co_u32 v141, vcc, v133, v137, vcc          // addrVgpr = C + index*bytes (hi)
_global_load_b128 v[144:147], v[140:141], off, offset:0 // load C for beta calc
GLOBAL_OFFSET_D 140, 128, 129, sgprWorkGroup2, 136
v_mov_b32 v136, v140                               // temp store offset 0
v_mov_b32 v137, v141                               // temp store offset 1
_v_add_co_u32 v140, vcc, v130, v136                // addrVgpr = D + index*bytes (lo)
_v_addc_co_u32 v141, vcc, v131, v137, vcc          // addrVgpr = D + index*bytes (hi)

/* rC *= alpha batchElements=[(13, 0, 0, 0)] */
v_mul_f64 v[134:135], s[sgprAlpha+0:sgprAlpha+0+1], v[vgprValuC+50:vgprValuC+50+1] // 
v_mul_f64 v[136:137], s[sgprAlpha+2:sgprAlpha+2+1], v[vgprValuC+50:vgprValuC+50+1] // 
v_fma_f64 v[vgprValuC+148:vgprValuC+148+1], s[sgprAlpha+2:sgprAlpha+2+1], -v[vgprValuC+114:vgprValuC+114+1], v[134:135]
v_fma_f64 v[vgprValuC+148 +2:vgprValuC+148 +2+1], s[sgprAlpha+0:sgprAlpha+0+1], v[vgprValuC+114:vgprValuC+114+1], v[136:137]
s_waitcnt vmcnt(0)                                 // wait C

/* apply mask, calc new C and issue writes */
v_fma_f64 v[vgprValuC+148:vgprValuC+148+1], v[144:145], s[sgprBeta+0:sgprBeta+0+1], v[vgprValuC+148:vgprValuC+148+1]
v_fma_f64 v[vgprValuC+148:vgprValuC+148+1], v[146:147], -s[sgprBeta+2:sgprBeta+2+1], v[vgprValuC+148:vgprValuC+148+1]
v_fma_f64 v[vgprValuC+150:vgprValuC+150+1], v[144:145], s[sgprBeta+2:sgprBeta+2+1], v[vgprValuC+150:vgprValuC+150+1]
v_fma_f64 v[vgprValuC+150:vgprValuC+150+1], v[146:147], s[sgprBeta+0:sgprBeta+0+1], v[vgprValuC+150:vgprValuC+150+1]
_global_store_b128 v[140:141], v[148:151], off     // store D
s_nop 0                                            // 1 wait state required when next inst writes vgprs held by previous dwordx4 store inst
/* optSingleColVgpr=0 optSharedColVgpr=0 optSGPRUsage=None optSrdIncForRow=0 */

/******************************************/
/* Global Write Alpha Beta Batch #27 (d1,d0,vc1,vc0) = */
/*    (13,1,0,0:vw1)                      */
/******************************************/

/* calc coords, apply mask, and issue loads (if necessary) */
/* (d1,vc1,d0,vc0)=(13,0,1,0) */
_v_add_co_u32 v134, vcc, v128, 64                  // coord0.1: coord0 += d0*sg0*VW + vc0
GLOBAL_OFFSET_C 140, 134, 129, sgprWorkGroup2, 136
v_mov_b32 v136, v140                               // temp store offset 0
v_mov_b32 v137, v141                               // temp store offset 1
_v_add_co_u32 v140, vcc, v132, v136                // addrVgpr = C + index*bytes (lo)
_v_addc_co_u32 v141, vcc, v133, v137, vcc          // addrVgpr = C + index*bytes (hi)
_global_load_b128 v[144:147], v[140:141], off, offset:0 // load C for beta calc
GLOBAL_OFFSET_D 140, 134, 129, sgprWorkGroup2, 136
v_mov_b32 v136, v140                               // temp store offset 0
v_mov_b32 v137, v141                               // temp store offset 1
_v_add_co_u32 v140, vcc, v130, v136                // addrVgpr = D + index*bytes (lo)
_v_addc_co_u32 v141, vcc, v131, v137, vcc          // addrVgpr = D + index*bytes (hi)

/* rC *= alpha batchElements=[(13, 1, 0, 0)] */
v_mul_f64 v[134:135], s[sgprAlpha+0:sgprAlpha+0+1], v[vgprValuC+58:vgprValuC+58+1] // 
v_mul_f64 v[136:137], s[sgprAlpha+2:sgprAlpha+2+1], v[vgprValuC+58:vgprValuC+58+1] // 
v_fma_f64 v[vgprValuC+148:vgprValuC+148+1], s[sgprAlpha+2:sgprAlpha+2+1], -v[vgprValuC+122:vgprValuC+122+1], v[134:135]
v_fma_f64 v[vgprValuC+148 +2:vgprValuC+148 +2+1], s[sgprAlpha+0:sgprAlpha+0+1], v[vgprValuC+122:vgprValuC+122+1], v[136:137]
s_waitcnt vmcnt(0)                                 // wait C

/* apply mask, calc new C and issue writes */
v_fma_f64 v[vgprValuC+148:vgprValuC+148+1], v[144:145], s[sgprBeta+0:sgprBeta+0+1], v[vgprValuC+148:vgprValuC+148+1]
v_fma_f64 v[vgprValuC+148:vgprValuC+148+1], v[146:147], -s[sgprBeta+2:sgprBeta+2+1], v[vgprValuC+148:vgprValuC+148+1]
v_fma_f64 v[vgprValuC+150:vgprValuC+150+1], v[144:145], s[sgprBeta+2:sgprBeta+2+1], v[vgprValuC+150:vgprValuC+150+1]
v_fma_f64 v[vgprValuC+150:vgprValuC+150+1], v[146:147], s[sgprBeta+0:sgprBeta+0+1], v[vgprValuC+150:vgprValuC+150+1]
_global_store_b128 v[140:141], v[148:151], off     // store D
s_nop 0                                            // 1 wait state required when next inst writes vgprs held by previous dwordx4 store inst
/* optSingleColVgpr=0 optSharedColVgpr=0 optSGPRUsage=None optSrdIncForRow=0 */

/******************************************/
/* Global Write Alpha Beta Batch #28 (d1,d0,vc1,vc0) = */
/*    (14,0,0,0:vw1)                      */
/******************************************/

/* calc coords, apply mask, and issue loads (if necessary) */
/* (d1,vc1,d0,vc0)=(14,0,0,0) */
_v_add_co_u32 v129, vcc, v129, 4                   // coord1.1: coord1Vgpr += d1*sg1*VW + vc1
GLOBAL_OFFSET_C 140, 128, 129, sgprWorkGroup2, 136
v_mov_b32 v136, v140                               // temp store offset 0
v_mov_b32 v137, v141                               // temp store offset 1
_v_add_co_u32 v140, vcc, v132, v136                // addrVgpr = C + index*bytes (lo)
_v_addc_co_u32 v141, vcc, v133, v137, vcc          // addrVgpr = C + index*bytes (hi)
_global_load_b128 v[144:147], v[140:141], off, offset:0 // load C for beta calc
GLOBAL_OFFSET_D 140, 128, 129, sgprWorkGroup2, 136
v_mov_b32 v136, v140                               // temp store offset 0
v_mov_b32 v137, v141                               // temp store offset 1
_v_add_co_u32 v140, vcc, v130, v136                // addrVgpr = D + index*bytes (lo)
_v_addc_co_u32 v141, vcc, v131, v137, vcc          // addrVgpr = D + index*bytes (hi)

/* rC *= alpha batchElements=[(14, 0, 0, 0)] */
v_mul_f64 v[134:135], s[sgprAlpha+0:sgprAlpha+0+1], v[vgprValuC+52:vgprValuC+52+1] // 
v_mul_f64 v[136:137], s[sgprAlpha+2:sgprAlpha+2+1], v[vgprValuC+52:vgprValuC+52+1] // 
v_fma_f64 v[vgprValuC+148:vgprValuC+148+1], s[sgprAlpha+2:sgprAlpha+2+1], -v[vgprValuC+116:vgprValuC+116+1], v[134:135]
v_fma_f64 v[vgprValuC+148 +2:vgprValuC+148 +2+1], s[sgprAlpha+0:sgprAlpha+0+1], v[vgprValuC+116:vgprValuC+116+1], v[136:137]
s_waitcnt vmcnt(0)                                 // wait C

/* apply mask, calc new C and issue writes */
v_fma_f64 v[vgprValuC+148:vgprValuC+148+1], v[144:145], s[sgprBeta+0:sgprBeta+0+1], v[vgprValuC+148:vgprValuC+148+1]
v_fma_f64 v[vgprValuC+148:vgprValuC+148+1], v[146:147], -s[sgprBeta+2:sgprBeta+2+1], v[vgprValuC+148:vgprValuC+148+1]
v_fma_f64 v[vgprValuC+150:vgprValuC+150+1], v[144:145], s[sgprBeta+2:sgprBeta+2+1], v[vgprValuC+150:vgprValuC+150+1]
v_fma_f64 v[vgprValuC+150:vgprValuC+150+1], v[146:147], s[sgprBeta+0:sgprBeta+0+1], v[vgprValuC+150:vgprValuC+150+1]
_global_store_b128 v[140:141], v[148:151], off     // store D
s_nop 0                                            // 1 wait state required when next inst writes vgprs held by previous dwordx4 store inst
/* optSingleColVgpr=0 optSharedColVgpr=0 optSGPRUsage=None optSrdIncForRow=0 */

/******************************************/
/* Global Write Alpha Beta Batch #29 (d1,d0,vc1,vc0) = */
/*    (14,1,0,0:vw1)                      */
/******************************************/

/* calc coords, apply mask, and issue loads (if necessary) */
/* (d1,vc1,d0,vc0)=(14,0,1,0) */
_v_add_co_u32 v134, vcc, v128, 64                  // coord0.1: coord0 += d0*sg0*VW + vc0
GLOBAL_OFFSET_C 140, 134, 129, sgprWorkGroup2, 136
v_mov_b32 v136, v140                               // temp store offset 0
v_mov_b32 v137, v141                               // temp store offset 1
_v_add_co_u32 v140, vcc, v132, v136                // addrVgpr = C + index*bytes (lo)
_v_addc_co_u32 v141, vcc, v133, v137, vcc          // addrVgpr = C + index*bytes (hi)
_global_load_b128 v[144:147], v[140:141], off, offset:0 // load C for beta calc
GLOBAL_OFFSET_D 140, 134, 129, sgprWorkGroup2, 136
v_mov_b32 v136, v140                               // temp store offset 0
v_mov_b32 v137, v141                               // temp store offset 1
_v_add_co_u32 v140, vcc, v130, v136                // addrVgpr = D + index*bytes (lo)
_v_addc_co_u32 v141, vcc, v131, v137, vcc          // addrVgpr = D + index*bytes (hi)

/* rC *= alpha batchElements=[(14, 1, 0, 0)] */
v_mul_f64 v[134:135], s[sgprAlpha+0:sgprAlpha+0+1], v[vgprValuC+60:vgprValuC+60+1] // 
v_mul_f64 v[136:137], s[sgprAlpha+2:sgprAlpha+2+1], v[vgprValuC+60:vgprValuC+60+1] // 
v_fma_f64 v[vgprValuC+148:vgprValuC+148+1], s[sgprAlpha+2:sgprAlpha+2+1], -v[vgprValuC+124:vgprValuC+124+1], v[134:135]
v_fma_f64 v[vgprValuC+148 +2:vgprValuC+148 +2+1], s[sgprAlpha+0:sgprAlpha+0+1], v[vgprValuC+124:vgprValuC+124+1], v[136:137]
s_waitcnt vmcnt(0)                                 // wait C

/* apply mask, calc new C and issue writes */
v_fma_f64 v[vgprValuC+148:vgprValuC+148+1], v[144:145], s[sgprBeta+0:sgprBeta+0+1], v[vgprValuC+148:vgprValuC+148+1]
v_fma_f64 v[vgprValuC+148:vgprValuC+148+1], v[146:147], -s[sgprBeta+2:sgprBeta+2+1], v[vgprValuC+148:vgprValuC+148+1]
v_fma_f64 v[vgprValuC+150:vgprValuC+150+1], v[144:145], s[sgprBeta+2:sgprBeta+2+1], v[vgprValuC+150:vgprValuC+150+1]
v_fma_f64 v[vgprValuC+150:vgprValuC+150+1], v[146:147], s[sgprBeta+0:sgprBeta+0+1], v[vgprValuC+150:vgprValuC+150+1]
_global_store_b128 v[140:141], v[148:151], off     // store D
s_nop 0                                            // 1 wait state required when next inst writes vgprs held by previous dwordx4 store inst
/* optSingleColVgpr=0 optSharedColVgpr=0 optSGPRUsage=None optSrdIncForRow=0 */

/******************************************/
/* Global Write Alpha Beta Batch #30 (d1,d0,vc1,vc0) = */
/*    (15,0,0,0:vw1)                      */
/******************************************/

/* calc coords, apply mask, and issue loads (if necessary) */
/* (d1,vc1,d0,vc0)=(15,0,0,0) */
_v_add_co_u32 v129, vcc, v129, 4                   // coord1.1: coord1Vgpr += d1*sg1*VW + vc1
GLOBAL_OFFSET_C 140, 128, 129, sgprWorkGroup2, 136
v_mov_b32 v136, v140                               // temp store offset 0
v_mov_b32 v137, v141                               // temp store offset 1
_v_add_co_u32 v140, vcc, v132, v136                // addrVgpr = C + index*bytes (lo)
_v_addc_co_u32 v141, vcc, v133, v137, vcc          // addrVgpr = C + index*bytes (hi)
_global_load_b128 v[144:147], v[140:141], off, offset:0 // load C for beta calc
GLOBAL_OFFSET_D 140, 128, 129, sgprWorkGroup2, 136
v_mov_b32 v136, v140                               // temp store offset 0
v_mov_b32 v137, v141                               // temp store offset 1
_v_add_co_u32 v140, vcc, v130, v136                // addrVgpr = D + index*bytes (lo)
_v_addc_co_u32 v141, vcc, v131, v137, vcc          // addrVgpr = D + index*bytes (hi)

/* rC *= alpha batchElements=[(15, 0, 0, 0)] */
v_mul_f64 v[134:135], s[sgprAlpha+0:sgprAlpha+0+1], v[vgprValuC+54:vgprValuC+54+1] // 
v_mul_f64 v[136:137], s[sgprAlpha+2:sgprAlpha+2+1], v[vgprValuC+54:vgprValuC+54+1] // 
v_fma_f64 v[vgprValuC+148:vgprValuC+148+1], s[sgprAlpha+2:sgprAlpha+2+1], -v[vgprValuC+118:vgprValuC+118+1], v[134:135]
v_fma_f64 v[vgprValuC+148 +2:vgprValuC+148 +2+1], s[sgprAlpha+0:sgprAlpha+0+1], v[vgprValuC+118:vgprValuC+118+1], v[136:137]
s_waitcnt vmcnt(0)                                 // wait C

/* apply mask, calc new C and issue writes */
v_fma_f64 v[vgprValuC+148:vgprValuC+148+1], v[144:145], s[sgprBeta+0:sgprBeta+0+1], v[vgprValuC+148:vgprValuC+148+1]
v_fma_f64 v[vgprValuC+148:vgprValuC+148+1], v[146:147], -s[sgprBeta+2:sgprBeta+2+1], v[vgprValuC+148:vgprValuC+148+1]
v_fma_f64 v[vgprValuC+150:vgprValuC+150+1], v[144:145], s[sgprBeta+2:sgprBeta+2+1], v[vgprValuC+150:vgprValuC+150+1]
v_fma_f64 v[vgprValuC+150:vgprValuC+150+1], v[146:147], s[sgprBeta+0:sgprBeta+0+1], v[vgprValuC+150:vgprValuC+150+1]
_global_store_b128 v[140:141], v[148:151], off     // store D
s_nop 0                                            // 1 wait state required when next inst writes vgprs held by previous dwordx4 store inst
/* optSingleColVgpr=0 optSharedColVgpr=0 optSGPRUsage=None optSrdIncForRow=0 */

/******************************************/
/* Global Write Alpha Beta Batch #31 (d1,d0,vc1,vc0) = */
/*    (15,1,0,0:vw1)                      */
/******************************************/

/* calc coords, apply mask, and issue loads (if necessary) */
/* (d1,vc1,d0,vc0)=(15,0,1,0) */
_v_add_co_u32 v134, vcc, v128, 64                  // coord0.1: coord0 += d0*sg0*VW + vc0
GLOBAL_OFFSET_C 140, 134, 129, sgprWorkGroup2, 136
v_mov_b32 v136, v140                               // temp store offset 0
v_mov_b32 v137, v141                               // temp store offset 1
_v_add_co_u32 v140, vcc, v132, v136                // addrVgpr = C + index*bytes (lo)
_v_addc_co_u32 v141, vcc, v133, v137, vcc          // addrVgpr = C + index*bytes (hi)
_global_load_b128 v[144:147], v[140:141], off, offset:0 // load C for beta calc
GLOBAL_OFFSET_D 140, 134, 129, sgprWorkGroup2, 136
v_mov_b32 v136, v140                               // temp store offset 0
v_mov_b32 v137, v141                               // temp store offset 1
_v_add_co_u32 v140, vcc, v130, v136                // addrVgpr = D + index*bytes (lo)
_v_addc_co_u32 v141, vcc, v131, v137, vcc          // addrVgpr = D + index*bytes (hi)

/* rC *= alpha batchElements=[(15, 1, 0, 0)] */
v_mul_f64 v[134:135], s[sgprAlpha+0:sgprAlpha+0+1], v[vgprValuC+62:vgprValuC+62+1] // 
v_mul_f64 v[136:137], s[sgprAlpha+2:sgprAlpha+2+1], v[vgprValuC+62:vgprValuC+62+1] // 
v_fma_f64 v[vgprValuC+148:vgprValuC+148+1], s[sgprAlpha+2:sgprAlpha+2+1], -v[vgprValuC+126:vgprValuC+126+1], v[134:135]
v_fma_f64 v[vgprValuC+148 +2:vgprValuC+148 +2+1], s[sgprAlpha+0:sgprAlpha+0+1], v[vgprValuC+126:vgprValuC+126+1], v[136:137]
s_waitcnt vmcnt(0)                                 // wait C

/* apply mask, calc new C and issue writes */
v_fma_f64 v[vgprValuC+148:vgprValuC+148+1], v[144:145], s[sgprBeta+0:sgprBeta+0+1], v[vgprValuC+148:vgprValuC+148+1]
v_fma_f64 v[vgprValuC+148:vgprValuC+148+1], v[146:147], -s[sgprBeta+2:sgprBeta+2+1], v[vgprValuC+148:vgprValuC+148+1]
v_fma_f64 v[vgprValuC+150:vgprValuC+150+1], v[144:145], s[sgprBeta+2:sgprBeta+2+1], v[vgprValuC+150:vgprValuC+150+1]
v_fma_f64 v[vgprValuC+150:vgprValuC+150+1], v[146:147], s[sgprBeta+0:sgprBeta+0+1], v[vgprValuC+150:vgprValuC+150+1]
_global_store_b128 v[140:141], v[148:151], off     // store D
s_nop 0                                            // 1 wait state required when next inst writes vgprs held by previous dwordx4 store inst
s_branch label_GW_End_37                           // jump to end
GW_B1_E1_36:

/* edge=1, allocate 6 sgpr. perBatchTmpS=4 perBatchMaskS=0 perElementMaskS=2 elementsPerBatch=1 */
/* optSingleColVgpr=0 optSharedColVgpr=0 optSGPRUsage=None optSrdIncForRow=0 */

/******************************************/
/* Global Write Alpha Beta Edge Batch #0 (d1,d0,vc1,vc0) = */
/*    (0,0,0,0:vw1)                       */
/******************************************/

/* calc coords, apply mask, and issue loads (if necessary) */
/* (d1,vc1,d0,vc0)=(0,0,0,0) */
GLOBAL_OFFSET_C 140, 128, 129, sgprWorkGroup2, 136
v_mov_b32 v136, v140                               // temp store offset 0
v_mov_b32 v137, v141                               // temp store offset 1
v_cmp_lt_u32 s[42:43], v128, s[sgprSizesFree+0]    // coord0 < size0
v_cmp_lt_u32 s[44:45], v129, s[sgprSizesFree+1]    // coord1 < size1
s_and_b64 s[46:47], s[42:43], s[44:45]             // in0 && in1
s_mov_b64 exec, s[46:47]                           // sgprs -> exec
_v_add_co_u32 v140, vcc, v132, v136                // addrVgpr = C + index*bytes (lo)
_v_addc_co_u32 v141, vcc, v133, v137, vcc          // addrVgpr = C + index*bytes (hi)
_global_load_b128 v[144:147], v[140:141], off, offset:0 // load C for beta calc
GLOBAL_OFFSET_D 140, 128, 129, sgprWorkGroup2, 136
v_mov_b32 v136, v140                               // temp store offset 0
v_mov_b32 v137, v141                               // temp store offset 1
v_cmp_lt_u32 s[42:43], v128, s[sgprSizesFree+0]    // coord0 < size0
v_cmp_lt_u32 s[44:45], v129, s[sgprSizesFree+1]    // coord1 < size1
s_and_b64 s[46:47], s[42:43], s[44:45]             // in0 && in1
s_mov_b64 exec, s[46:47]                           // sgprs -> exec
_v_add_co_u32 v140, vcc, v130, v136                // addrVgpr = D + index*bytes (lo)
_v_addc_co_u32 v141, vcc, v131, v137, vcc          // addrVgpr = D + index*bytes (hi)
s_mov_b64 exec, -1                                 // full mask -1 -> exec

/* rC *= alpha batchElements=[(0, 0, 0, 0)] */
v_mul_f64 v[134:135], s[sgprAlpha+0:sgprAlpha+0+1], v[vgprValuC+0:vgprValuC+0+1] // 
v_mul_f64 v[136:137], s[sgprAlpha+2:sgprAlpha+2+1], v[vgprValuC+0:vgprValuC+0+1] // 
v_fma_f64 v[vgprValuC+148:vgprValuC+148+1], s[sgprAlpha+2:sgprAlpha+2+1], -v[vgprValuC+64:vgprValuC+64+1], v[134:135]
v_fma_f64 v[vgprValuC+148 +2:vgprValuC+148 +2+1], s[sgprAlpha+0:sgprAlpha+0+1], v[vgprValuC+64:vgprValuC+64+1], v[136:137]
s_waitcnt vmcnt(0)                                 // wait C

/* apply mask, calc new C and issue writes */
s_mov_b64 exec, s[46:47]                           // sgprs -> exec
v_fma_f64 v[vgprValuC+148:vgprValuC+148+1], v[144:145], s[sgprBeta+0:sgprBeta+0+1], v[vgprValuC+148:vgprValuC+148+1]
v_fma_f64 v[vgprValuC+148:vgprValuC+148+1], v[146:147], -s[sgprBeta+2:sgprBeta+2+1], v[vgprValuC+148:vgprValuC+148+1]
v_fma_f64 v[vgprValuC+150:vgprValuC+150+1], v[144:145], s[sgprBeta+2:sgprBeta+2+1], v[vgprValuC+150:vgprValuC+150+1]
v_fma_f64 v[vgprValuC+150:vgprValuC+150+1], v[146:147], s[sgprBeta+0:sgprBeta+0+1], v[vgprValuC+150:vgprValuC+150+1]
_global_store_b128 v[140:141], v[148:151], off     // store D
s_mov_b64 exec, -1                                 // full mask -> exec
s_nop 0                                            // 1 wait state required when next inst writes vgprs held by previous dwordx4 store inst
/* optSingleColVgpr=0 optSharedColVgpr=0 optSGPRUsage=None optSrdIncForRow=0 */

/******************************************/
/* Global Write Alpha Beta Edge Batch #1 (d1,d0,vc1,vc0) = */
/*    (0,1,0,0:vw1)                       */
/******************************************/

/* calc coords, apply mask, and issue loads (if necessary) */
/* (d1,vc1,d0,vc0)=(0,0,1,0) */
_v_add_co_u32 v134, vcc, v128, 64                  // coord0.1: coord0 += d0*sg0*VW + vc0
GLOBAL_OFFSET_C 140, 134, 129, sgprWorkGroup2, 136
v_mov_b32 v136, v140                               // temp store offset 0
v_mov_b32 v137, v141                               // temp store offset 1
v_cmp_lt_u32 s[42:43], v134, s[sgprSizesFree+0]    // coord0 < size0
v_cmp_lt_u32 s[44:45], v129, s[sgprSizesFree+1]    // coord1 < size1
s_and_b64 s[46:47], s[42:43], s[44:45]             // in0 && in1
s_mov_b64 exec, s[46:47]                           // sgprs -> exec
_v_add_co_u32 v140, vcc, v132, v136                // addrVgpr = C + index*bytes (lo)
_v_addc_co_u32 v141, vcc, v133, v137, vcc          // addrVgpr = C + index*bytes (hi)
_global_load_b128 v[144:147], v[140:141], off, offset:0 // load C for beta calc
GLOBAL_OFFSET_D 140, 134, 129, sgprWorkGroup2, 136
v_mov_b32 v136, v140                               // temp store offset 0
v_mov_b32 v137, v141                               // temp store offset 1
v_cmp_lt_u32 s[42:43], v134, s[sgprSizesFree+0]    // coord0 < size0
v_cmp_lt_u32 s[44:45], v129, s[sgprSizesFree+1]    // coord1 < size1
s_and_b64 s[46:47], s[42:43], s[44:45]             // in0 && in1
s_mov_b64 exec, s[46:47]                           // sgprs -> exec
_v_add_co_u32 v140, vcc, v130, v136                // addrVgpr = D + index*bytes (lo)
_v_addc_co_u32 v141, vcc, v131, v137, vcc          // addrVgpr = D + index*bytes (hi)
s_mov_b64 exec, -1                                 // full mask -1 -> exec

/* rC *= alpha batchElements=[(0, 1, 0, 0)] */
v_mul_f64 v[134:135], s[sgprAlpha+0:sgprAlpha+0+1], v[vgprValuC+8:vgprValuC+8+1] // 
v_mul_f64 v[136:137], s[sgprAlpha+2:sgprAlpha+2+1], v[vgprValuC+8:vgprValuC+8+1] // 
v_fma_f64 v[vgprValuC+148:vgprValuC+148+1], s[sgprAlpha+2:sgprAlpha+2+1], -v[vgprValuC+72:vgprValuC+72+1], v[134:135]
v_fma_f64 v[vgprValuC+148 +2:vgprValuC+148 +2+1], s[sgprAlpha+0:sgprAlpha+0+1], v[vgprValuC+72:vgprValuC+72+1], v[136:137]
s_waitcnt vmcnt(0)                                 // wait C

/* apply mask, calc new C and issue writes */
s_mov_b64 exec, s[46:47]                           // sgprs -> exec
v_fma_f64 v[vgprValuC+148:vgprValuC+148+1], v[144:145], s[sgprBeta+0:sgprBeta+0+1], v[vgprValuC+148:vgprValuC+148+1]
v_fma_f64 v[vgprValuC+148:vgprValuC+148+1], v[146:147], -s[sgprBeta+2:sgprBeta+2+1], v[vgprValuC+148:vgprValuC+148+1]
v_fma_f64 v[vgprValuC+150:vgprValuC+150+1], v[144:145], s[sgprBeta+2:sgprBeta+2+1], v[vgprValuC+150:vgprValuC+150+1]
v_fma_f64 v[vgprValuC+150:vgprValuC+150+1], v[146:147], s[sgprBeta+0:sgprBeta+0+1], v[vgprValuC+150:vgprValuC+150+1]
_global_store_b128 v[140:141], v[148:151], off     // store D
s_mov_b64 exec, -1                                 // full mask -> exec
s_nop 0                                            // 1 wait state required when next inst writes vgprs held by previous dwordx4 store inst
/* optSingleColVgpr=0 optSharedColVgpr=0 optSGPRUsage=None optSrdIncForRow=0 */

/******************************************/
/* Global Write Alpha Beta Edge Batch #2 (d1,d0,vc1,vc0) = */
/*    (1,0,0,0:vw1)                       */
/******************************************/

/* calc coords, apply mask, and issue loads (if necessary) */
/* (d1,vc1,d0,vc0)=(1,0,0,0) */
_v_add_co_u32 v129, vcc, v129, 4                   // coord1.1: coord1Vgpr += d1*sg1*VW + vc1
GLOBAL_OFFSET_C 140, 128, 129, sgprWorkGroup2, 136
v_mov_b32 v136, v140                               // temp store offset 0
v_mov_b32 v137, v141                               // temp store offset 1
v_cmp_lt_u32 s[42:43], v128, s[sgprSizesFree+0]    // coord0 < size0
v_cmp_lt_u32 s[44:45], v129, s[sgprSizesFree+1]    // coord1 < size1
s_and_b64 s[46:47], s[42:43], s[44:45]             // in0 && in1
s_mov_b64 exec, s[46:47]                           // sgprs -> exec
_v_add_co_u32 v140, vcc, v132, v136                // addrVgpr = C + index*bytes (lo)
_v_addc_co_u32 v141, vcc, v133, v137, vcc          // addrVgpr = C + index*bytes (hi)
_global_load_b128 v[144:147], v[140:141], off, offset:0 // load C for beta calc
GLOBAL_OFFSET_D 140, 128, 129, sgprWorkGroup2, 136
v_mov_b32 v136, v140                               // temp store offset 0
v_mov_b32 v137, v141                               // temp store offset 1
v_cmp_lt_u32 s[42:43], v128, s[sgprSizesFree+0]    // coord0 < size0
v_cmp_lt_u32 s[44:45], v129, s[sgprSizesFree+1]    // coord1 < size1
s_and_b64 s[46:47], s[42:43], s[44:45]             // in0 && in1
s_mov_b64 exec, s[46:47]                           // sgprs -> exec
_v_add_co_u32 v140, vcc, v130, v136                // addrVgpr = D + index*bytes (lo)
_v_addc_co_u32 v141, vcc, v131, v137, vcc          // addrVgpr = D + index*bytes (hi)
s_mov_b64 exec, -1                                 // full mask -1 -> exec

/* rC *= alpha batchElements=[(1, 0, 0, 0)] */
v_mul_f64 v[134:135], s[sgprAlpha+0:sgprAlpha+0+1], v[vgprValuC+2:vgprValuC+2+1] // 
v_mul_f64 v[136:137], s[sgprAlpha+2:sgprAlpha+2+1], v[vgprValuC+2:vgprValuC+2+1] // 
v_fma_f64 v[vgprValuC+148:vgprValuC+148+1], s[sgprAlpha+2:sgprAlpha+2+1], -v[vgprValuC+66:vgprValuC+66+1], v[134:135]
v_fma_f64 v[vgprValuC+148 +2:vgprValuC+148 +2+1], s[sgprAlpha+0:sgprAlpha+0+1], v[vgprValuC+66:vgprValuC+66+1], v[136:137]
s_waitcnt vmcnt(0)                                 // wait C

/* apply mask, calc new C and issue writes */
s_mov_b64 exec, s[46:47]                           // sgprs -> exec
v_fma_f64 v[vgprValuC+148:vgprValuC+148+1], v[144:145], s[sgprBeta+0:sgprBeta+0+1], v[vgprValuC+148:vgprValuC+148+1]
v_fma_f64 v[vgprValuC+148:vgprValuC+148+1], v[146:147], -s[sgprBeta+2:sgprBeta+2+1], v[vgprValuC+148:vgprValuC+148+1]
v_fma_f64 v[vgprValuC+150:vgprValuC+150+1], v[144:145], s[sgprBeta+2:sgprBeta+2+1], v[vgprValuC+150:vgprValuC+150+1]
v_fma_f64 v[vgprValuC+150:vgprValuC+150+1], v[146:147], s[sgprBeta+0:sgprBeta+0+1], v[vgprValuC+150:vgprValuC+150+1]
_global_store_b128 v[140:141], v[148:151], off     // store D
s_mov_b64 exec, -1                                 // full mask -> exec
s_nop 0                                            // 1 wait state required when next inst writes vgprs held by previous dwordx4 store inst
/* optSingleColVgpr=0 optSharedColVgpr=0 optSGPRUsage=None optSrdIncForRow=0 */

/******************************************/
/* Global Write Alpha Beta Edge Batch #3 (d1,d0,vc1,vc0) = */
/*    (1,1,0,0:vw1)                       */
/******************************************/

/* calc coords, apply mask, and issue loads (if necessary) */
/* (d1,vc1,d0,vc0)=(1,0,1,0) */
_v_add_co_u32 v134, vcc, v128, 64                  // coord0.1: coord0 += d0*sg0*VW + vc0
GLOBAL_OFFSET_C 140, 134, 129, sgprWorkGroup2, 136
v_mov_b32 v136, v140                               // temp store offset 0
v_mov_b32 v137, v141                               // temp store offset 1
v_cmp_lt_u32 s[42:43], v134, s[sgprSizesFree+0]    // coord0 < size0
v_cmp_lt_u32 s[44:45], v129, s[sgprSizesFree+1]    // coord1 < size1
s_and_b64 s[46:47], s[42:43], s[44:45]             // in0 && in1
s_mov_b64 exec, s[46:47]                           // sgprs -> exec
_v_add_co_u32 v140, vcc, v132, v136                // addrVgpr = C + index*bytes (lo)
_v_addc_co_u32 v141, vcc, v133, v137, vcc          // addrVgpr = C + index*bytes (hi)
_global_load_b128 v[144:147], v[140:141], off, offset:0 // load C for beta calc
GLOBAL_OFFSET_D 140, 134, 129, sgprWorkGroup2, 136
v_mov_b32 v136, v140                               // temp store offset 0
v_mov_b32 v137, v141                               // temp store offset 1
v_cmp_lt_u32 s[42:43], v134, s[sgprSizesFree+0]    // coord0 < size0
v_cmp_lt_u32 s[44:45], v129, s[sgprSizesFree+1]    // coord1 < size1
s_and_b64 s[46:47], s[42:43], s[44:45]             // in0 && in1
s_mov_b64 exec, s[46:47]                           // sgprs -> exec
_v_add_co_u32 v140, vcc, v130, v136                // addrVgpr = D + index*bytes (lo)
_v_addc_co_u32 v141, vcc, v131, v137, vcc          // addrVgpr = D + index*bytes (hi)
s_mov_b64 exec, -1                                 // full mask -1 -> exec

/* rC *= alpha batchElements=[(1, 1, 0, 0)] */
v_mul_f64 v[134:135], s[sgprAlpha+0:sgprAlpha+0+1], v[vgprValuC+10:vgprValuC+10+1] // 
v_mul_f64 v[136:137], s[sgprAlpha+2:sgprAlpha+2+1], v[vgprValuC+10:vgprValuC+10+1] // 
v_fma_f64 v[vgprValuC+148:vgprValuC+148+1], s[sgprAlpha+2:sgprAlpha+2+1], -v[vgprValuC+74:vgprValuC+74+1], v[134:135]
v_fma_f64 v[vgprValuC+148 +2:vgprValuC+148 +2+1], s[sgprAlpha+0:sgprAlpha+0+1], v[vgprValuC+74:vgprValuC+74+1], v[136:137]
s_waitcnt vmcnt(0)                                 // wait C

/* apply mask, calc new C and issue writes */
s_mov_b64 exec, s[46:47]                           // sgprs -> exec
v_fma_f64 v[vgprValuC+148:vgprValuC+148+1], v[144:145], s[sgprBeta+0:sgprBeta+0+1], v[vgprValuC+148:vgprValuC+148+1]
v_fma_f64 v[vgprValuC+148:vgprValuC+148+1], v[146:147], -s[sgprBeta+2:sgprBeta+2+1], v[vgprValuC+148:vgprValuC+148+1]
v_fma_f64 v[vgprValuC+150:vgprValuC+150+1], v[144:145], s[sgprBeta+2:sgprBeta+2+1], v[vgprValuC+150:vgprValuC+150+1]
v_fma_f64 v[vgprValuC+150:vgprValuC+150+1], v[146:147], s[sgprBeta+0:sgprBeta+0+1], v[vgprValuC+150:vgprValuC+150+1]
_global_store_b128 v[140:141], v[148:151], off     // store D
s_mov_b64 exec, -1                                 // full mask -> exec
s_nop 0                                            // 1 wait state required when next inst writes vgprs held by previous dwordx4 store inst
/* optSingleColVgpr=0 optSharedColVgpr=0 optSGPRUsage=None optSrdIncForRow=0 */

/******************************************/
/* Global Write Alpha Beta Edge Batch #4 (d1,d0,vc1,vc0) = */
/*    (2,0,0,0:vw1)                       */
/******************************************/

/* calc coords, apply mask, and issue loads (if necessary) */
/* (d1,vc1,d0,vc0)=(2,0,0,0) */
_v_add_co_u32 v129, vcc, v129, 4                   // coord1.1: coord1Vgpr += d1*sg1*VW + vc1
GLOBAL_OFFSET_C 140, 128, 129, sgprWorkGroup2, 136
v_mov_b32 v136, v140                               // temp store offset 0
v_mov_b32 v137, v141                               // temp store offset 1
v_cmp_lt_u32 s[42:43], v128, s[sgprSizesFree+0]    // coord0 < size0
v_cmp_lt_u32 s[44:45], v129, s[sgprSizesFree+1]    // coord1 < size1
s_and_b64 s[46:47], s[42:43], s[44:45]             // in0 && in1
s_mov_b64 exec, s[46:47]                           // sgprs -> exec
_v_add_co_u32 v140, vcc, v132, v136                // addrVgpr = C + index*bytes (lo)
_v_addc_co_u32 v141, vcc, v133, v137, vcc          // addrVgpr = C + index*bytes (hi)
_global_load_b128 v[144:147], v[140:141], off, offset:0 // load C for beta calc
GLOBAL_OFFSET_D 140, 128, 129, sgprWorkGroup2, 136
v_mov_b32 v136, v140                               // temp store offset 0
v_mov_b32 v137, v141                               // temp store offset 1
v_cmp_lt_u32 s[42:43], v128, s[sgprSizesFree+0]    // coord0 < size0
v_cmp_lt_u32 s[44:45], v129, s[sgprSizesFree+1]    // coord1 < size1
s_and_b64 s[46:47], s[42:43], s[44:45]             // in0 && in1
s_mov_b64 exec, s[46:47]                           // sgprs -> exec
_v_add_co_u32 v140, vcc, v130, v136                // addrVgpr = D + index*bytes (lo)
_v_addc_co_u32 v141, vcc, v131, v137, vcc          // addrVgpr = D + index*bytes (hi)
s_mov_b64 exec, -1                                 // full mask -1 -> exec

/* rC *= alpha batchElements=[(2, 0, 0, 0)] */
v_mul_f64 v[134:135], s[sgprAlpha+0:sgprAlpha+0+1], v[vgprValuC+4:vgprValuC+4+1] // 
v_mul_f64 v[136:137], s[sgprAlpha+2:sgprAlpha+2+1], v[vgprValuC+4:vgprValuC+4+1] // 
v_fma_f64 v[vgprValuC+148:vgprValuC+148+1], s[sgprAlpha+2:sgprAlpha+2+1], -v[vgprValuC+68:vgprValuC+68+1], v[134:135]
v_fma_f64 v[vgprValuC+148 +2:vgprValuC+148 +2+1], s[sgprAlpha+0:sgprAlpha+0+1], v[vgprValuC+68:vgprValuC+68+1], v[136:137]
s_waitcnt vmcnt(0)                                 // wait C

/* apply mask, calc new C and issue writes */
s_mov_b64 exec, s[46:47]                           // sgprs -> exec
v_fma_f64 v[vgprValuC+148:vgprValuC+148+1], v[144:145], s[sgprBeta+0:sgprBeta+0+1], v[vgprValuC+148:vgprValuC+148+1]
v_fma_f64 v[vgprValuC+148:vgprValuC+148+1], v[146:147], -s[sgprBeta+2:sgprBeta+2+1], v[vgprValuC+148:vgprValuC+148+1]
v_fma_f64 v[vgprValuC+150:vgprValuC+150+1], v[144:145], s[sgprBeta+2:sgprBeta+2+1], v[vgprValuC+150:vgprValuC+150+1]
v_fma_f64 v[vgprValuC+150:vgprValuC+150+1], v[146:147], s[sgprBeta+0:sgprBeta+0+1], v[vgprValuC+150:vgprValuC+150+1]
_global_store_b128 v[140:141], v[148:151], off     // store D
s_mov_b64 exec, -1                                 // full mask -> exec
s_nop 0                                            // 1 wait state required when next inst writes vgprs held by previous dwordx4 store inst
/* optSingleColVgpr=0 optSharedColVgpr=0 optSGPRUsage=None optSrdIncForRow=0 */

/******************************************/
/* Global Write Alpha Beta Edge Batch #5 (d1,d0,vc1,vc0) = */
/*    (2,1,0,0:vw1)                       */
/******************************************/

/* calc coords, apply mask, and issue loads (if necessary) */
/* (d1,vc1,d0,vc0)=(2,0,1,0) */
_v_add_co_u32 v134, vcc, v128, 64                  // coord0.1: coord0 += d0*sg0*VW + vc0
GLOBAL_OFFSET_C 140, 134, 129, sgprWorkGroup2, 136
v_mov_b32 v136, v140                               // temp store offset 0
v_mov_b32 v137, v141                               // temp store offset 1
v_cmp_lt_u32 s[42:43], v134, s[sgprSizesFree+0]    // coord0 < size0
v_cmp_lt_u32 s[44:45], v129, s[sgprSizesFree+1]    // coord1 < size1
s_and_b64 s[46:47], s[42:43], s[44:45]             // in0 && in1
s_mov_b64 exec, s[46:47]                           // sgprs -> exec
_v_add_co_u32 v140, vcc, v132, v136                // addrVgpr = C + index*bytes (lo)
_v_addc_co_u32 v141, vcc, v133, v137, vcc          // addrVgpr = C + index*bytes (hi)
_global_load_b128 v[144:147], v[140:141], off, offset:0 // load C for beta calc
GLOBAL_OFFSET_D 140, 134, 129, sgprWorkGroup2, 136
v_mov_b32 v136, v140                               // temp store offset 0
v_mov_b32 v137, v141                               // temp store offset 1
v_cmp_lt_u32 s[42:43], v134, s[sgprSizesFree+0]    // coord0 < size0
v_cmp_lt_u32 s[44:45], v129, s[sgprSizesFree+1]    // coord1 < size1
s_and_b64 s[46:47], s[42:43], s[44:45]             // in0 && in1
s_mov_b64 exec, s[46:47]                           // sgprs -> exec
_v_add_co_u32 v140, vcc, v130, v136                // addrVgpr = D + index*bytes (lo)
_v_addc_co_u32 v141, vcc, v131, v137, vcc          // addrVgpr = D + index*bytes (hi)
s_mov_b64 exec, -1                                 // full mask -1 -> exec

/* rC *= alpha batchElements=[(2, 1, 0, 0)] */
v_mul_f64 v[134:135], s[sgprAlpha+0:sgprAlpha+0+1], v[vgprValuC+12:vgprValuC+12+1] // 
v_mul_f64 v[136:137], s[sgprAlpha+2:sgprAlpha+2+1], v[vgprValuC+12:vgprValuC+12+1] // 
v_fma_f64 v[vgprValuC+148:vgprValuC+148+1], s[sgprAlpha+2:sgprAlpha+2+1], -v[vgprValuC+76:vgprValuC+76+1], v[134:135]
v_fma_f64 v[vgprValuC+148 +2:vgprValuC+148 +2+1], s[sgprAlpha+0:sgprAlpha+0+1], v[vgprValuC+76:vgprValuC+76+1], v[136:137]
s_waitcnt vmcnt(0)                                 // wait C

/* apply mask, calc new C and issue writes */
s_mov_b64 exec, s[46:47]                           // sgprs -> exec
v_fma_f64 v[vgprValuC+148:vgprValuC+148+1], v[144:145], s[sgprBeta+0:sgprBeta+0+1], v[vgprValuC+148:vgprValuC+148+1]
v_fma_f64 v[vgprValuC+148:vgprValuC+148+1], v[146:147], -s[sgprBeta+2:sgprBeta+2+1], v[vgprValuC+148:vgprValuC+148+1]
v_fma_f64 v[vgprValuC+150:vgprValuC+150+1], v[144:145], s[sgprBeta+2:sgprBeta+2+1], v[vgprValuC+150:vgprValuC+150+1]
v_fma_f64 v[vgprValuC+150:vgprValuC+150+1], v[146:147], s[sgprBeta+0:sgprBeta+0+1], v[vgprValuC+150:vgprValuC+150+1]
_global_store_b128 v[140:141], v[148:151], off     // store D
s_mov_b64 exec, -1                                 // full mask -> exec
s_nop 0                                            // 1 wait state required when next inst writes vgprs held by previous dwordx4 store inst
/* optSingleColVgpr=0 optSharedColVgpr=0 optSGPRUsage=None optSrdIncForRow=0 */

/******************************************/
/* Global Write Alpha Beta Edge Batch #6 (d1,d0,vc1,vc0) = */
/*    (3,0,0,0:vw1)                       */
/******************************************/

/* calc coords, apply mask, and issue loads (if necessary) */
/* (d1,vc1,d0,vc0)=(3,0,0,0) */
_v_add_co_u32 v129, vcc, v129, 4                   // coord1.1: coord1Vgpr += d1*sg1*VW + vc1
GLOBAL_OFFSET_C 140, 128, 129, sgprWorkGroup2, 136
v_mov_b32 v136, v140                               // temp store offset 0
v_mov_b32 v137, v141                               // temp store offset 1
v_cmp_lt_u32 s[42:43], v128, s[sgprSizesFree+0]    // coord0 < size0
v_cmp_lt_u32 s[44:45], v129, s[sgprSizesFree+1]    // coord1 < size1
s_and_b64 s[46:47], s[42:43], s[44:45]             // in0 && in1
s_mov_b64 exec, s[46:47]                           // sgprs -> exec
_v_add_co_u32 v140, vcc, v132, v136                // addrVgpr = C + index*bytes (lo)
_v_addc_co_u32 v141, vcc, v133, v137, vcc          // addrVgpr = C + index*bytes (hi)
_global_load_b128 v[144:147], v[140:141], off, offset:0 // load C for beta calc
GLOBAL_OFFSET_D 140, 128, 129, sgprWorkGroup2, 136
v_mov_b32 v136, v140                               // temp store offset 0
v_mov_b32 v137, v141                               // temp store offset 1
v_cmp_lt_u32 s[42:43], v128, s[sgprSizesFree+0]    // coord0 < size0
v_cmp_lt_u32 s[44:45], v129, s[sgprSizesFree+1]    // coord1 < size1
s_and_b64 s[46:47], s[42:43], s[44:45]             // in0 && in1
s_mov_b64 exec, s[46:47]                           // sgprs -> exec
_v_add_co_u32 v140, vcc, v130, v136                // addrVgpr = D + index*bytes (lo)
_v_addc_co_u32 v141, vcc, v131, v137, vcc          // addrVgpr = D + index*bytes (hi)
s_mov_b64 exec, -1                                 // full mask -1 -> exec

/* rC *= alpha batchElements=[(3, 0, 0, 0)] */
v_mul_f64 v[134:135], s[sgprAlpha+0:sgprAlpha+0+1], v[vgprValuC+6:vgprValuC+6+1] // 
v_mul_f64 v[136:137], s[sgprAlpha+2:sgprAlpha+2+1], v[vgprValuC+6:vgprValuC+6+1] // 
v_fma_f64 v[vgprValuC+148:vgprValuC+148+1], s[sgprAlpha+2:sgprAlpha+2+1], -v[vgprValuC+70:vgprValuC+70+1], v[134:135]
v_fma_f64 v[vgprValuC+148 +2:vgprValuC+148 +2+1], s[sgprAlpha+0:sgprAlpha+0+1], v[vgprValuC+70:vgprValuC+70+1], v[136:137]
s_waitcnt vmcnt(0)                                 // wait C

/* apply mask, calc new C and issue writes */
s_mov_b64 exec, s[46:47]                           // sgprs -> exec
v_fma_f64 v[vgprValuC+148:vgprValuC+148+1], v[144:145], s[sgprBeta+0:sgprBeta+0+1], v[vgprValuC+148:vgprValuC+148+1]
v_fma_f64 v[vgprValuC+148:vgprValuC+148+1], v[146:147], -s[sgprBeta+2:sgprBeta+2+1], v[vgprValuC+148:vgprValuC+148+1]
v_fma_f64 v[vgprValuC+150:vgprValuC+150+1], v[144:145], s[sgprBeta+2:sgprBeta+2+1], v[vgprValuC+150:vgprValuC+150+1]
v_fma_f64 v[vgprValuC+150:vgprValuC+150+1], v[146:147], s[sgprBeta+0:sgprBeta+0+1], v[vgprValuC+150:vgprValuC+150+1]
_global_store_b128 v[140:141], v[148:151], off     // store D
s_mov_b64 exec, -1                                 // full mask -> exec
s_nop 0                                            // 1 wait state required when next inst writes vgprs held by previous dwordx4 store inst
/* optSingleColVgpr=0 optSharedColVgpr=0 optSGPRUsage=None optSrdIncForRow=0 */

/******************************************/
/* Global Write Alpha Beta Edge Batch #7 (d1,d0,vc1,vc0) = */
/*    (3,1,0,0:vw1)                       */
/******************************************/

/* calc coords, apply mask, and issue loads (if necessary) */
/* (d1,vc1,d0,vc0)=(3,0,1,0) */
_v_add_co_u32 v134, vcc, v128, 64                  // coord0.1: coord0 += d0*sg0*VW + vc0
GLOBAL_OFFSET_C 140, 134, 129, sgprWorkGroup2, 136
v_mov_b32 v136, v140                               // temp store offset 0
v_mov_b32 v137, v141                               // temp store offset 1
v_cmp_lt_u32 s[42:43], v134, s[sgprSizesFree+0]    // coord0 < size0
v_cmp_lt_u32 s[44:45], v129, s[sgprSizesFree+1]    // coord1 < size1
s_and_b64 s[46:47], s[42:43], s[44:45]             // in0 && in1
s_mov_b64 exec, s[46:47]                           // sgprs -> exec
_v_add_co_u32 v140, vcc, v132, v136                // addrVgpr = C + index*bytes (lo)
_v_addc_co_u32 v141, vcc, v133, v137, vcc          // addrVgpr = C + index*bytes (hi)
_global_load_b128 v[144:147], v[140:141], off, offset:0 // load C for beta calc
GLOBAL_OFFSET_D 140, 134, 129, sgprWorkGroup2, 136
v_mov_b32 v136, v140                               // temp store offset 0
v_mov_b32 v137, v141                               // temp store offset 1
v_cmp_lt_u32 s[42:43], v134, s[sgprSizesFree+0]    // coord0 < size0
v_cmp_lt_u32 s[44:45], v129, s[sgprSizesFree+1]    // coord1 < size1
s_and_b64 s[46:47], s[42:43], s[44:45]             // in0 && in1
s_mov_b64 exec, s[46:47]                           // sgprs -> exec
_v_add_co_u32 v140, vcc, v130, v136                // addrVgpr = D + index*bytes (lo)
_v_addc_co_u32 v141, vcc, v131, v137, vcc          // addrVgpr = D + index*bytes (hi)
s_mov_b64 exec, -1                                 // full mask -1 -> exec

/* rC *= alpha batchElements=[(3, 1, 0, 0)] */
v_mul_f64 v[134:135], s[sgprAlpha+0:sgprAlpha+0+1], v[vgprValuC+14:vgprValuC+14+1] // 
v_mul_f64 v[136:137], s[sgprAlpha+2:sgprAlpha+2+1], v[vgprValuC+14:vgprValuC+14+1] // 
v_fma_f64 v[vgprValuC+148:vgprValuC+148+1], s[sgprAlpha+2:sgprAlpha+2+1], -v[vgprValuC+78:vgprValuC+78+1], v[134:135]
v_fma_f64 v[vgprValuC+148 +2:vgprValuC+148 +2+1], s[sgprAlpha+0:sgprAlpha+0+1], v[vgprValuC+78:vgprValuC+78+1], v[136:137]
s_waitcnt vmcnt(0)                                 // wait C

/* apply mask, calc new C and issue writes */
s_mov_b64 exec, s[46:47]                           // sgprs -> exec
v_fma_f64 v[vgprValuC+148:vgprValuC+148+1], v[144:145], s[sgprBeta+0:sgprBeta+0+1], v[vgprValuC+148:vgprValuC+148+1]
v_fma_f64 v[vgprValuC+148:vgprValuC+148+1], v[146:147], -s[sgprBeta+2:sgprBeta+2+1], v[vgprValuC+148:vgprValuC+148+1]
v_fma_f64 v[vgprValuC+150:vgprValuC+150+1], v[144:145], s[sgprBeta+2:sgprBeta+2+1], v[vgprValuC+150:vgprValuC+150+1]
v_fma_f64 v[vgprValuC+150:vgprValuC+150+1], v[146:147], s[sgprBeta+0:sgprBeta+0+1], v[vgprValuC+150:vgprValuC+150+1]
_global_store_b128 v[140:141], v[148:151], off     // store D
s_mov_b64 exec, -1                                 // full mask -> exec
s_nop 0                                            // 1 wait state required when next inst writes vgprs held by previous dwordx4 store inst
/* optSingleColVgpr=0 optSharedColVgpr=0 optSGPRUsage=None optSrdIncForRow=0 */

/******************************************/
/* Global Write Alpha Beta Edge Batch #8 (d1,d0,vc1,vc0) = */
/*    (4,0,0,0:vw1)                       */
/******************************************/

/* calc coords, apply mask, and issue loads (if necessary) */
/* (d1,vc1,d0,vc0)=(4,0,0,0) */
_v_add_co_u32 v129, vcc, v129, 4                   // coord1.1: coord1Vgpr += d1*sg1*VW + vc1
GLOBAL_OFFSET_C 140, 128, 129, sgprWorkGroup2, 136
v_mov_b32 v136, v140                               // temp store offset 0
v_mov_b32 v137, v141                               // temp store offset 1
v_cmp_lt_u32 s[42:43], v128, s[sgprSizesFree+0]    // coord0 < size0
v_cmp_lt_u32 s[44:45], v129, s[sgprSizesFree+1]    // coord1 < size1
s_and_b64 s[46:47], s[42:43], s[44:45]             // in0 && in1
s_mov_b64 exec, s[46:47]                           // sgprs -> exec
_v_add_co_u32 v140, vcc, v132, v136                // addrVgpr = C + index*bytes (lo)
_v_addc_co_u32 v141, vcc, v133, v137, vcc          // addrVgpr = C + index*bytes (hi)
_global_load_b128 v[144:147], v[140:141], off, offset:0 // load C for beta calc
GLOBAL_OFFSET_D 140, 128, 129, sgprWorkGroup2, 136
v_mov_b32 v136, v140                               // temp store offset 0
v_mov_b32 v137, v141                               // temp store offset 1
v_cmp_lt_u32 s[42:43], v128, s[sgprSizesFree+0]    // coord0 < size0
v_cmp_lt_u32 s[44:45], v129, s[sgprSizesFree+1]    // coord1 < size1
s_and_b64 s[46:47], s[42:43], s[44:45]             // in0 && in1
s_mov_b64 exec, s[46:47]                           // sgprs -> exec
_v_add_co_u32 v140, vcc, v130, v136                // addrVgpr = D + index*bytes (lo)
_v_addc_co_u32 v141, vcc, v131, v137, vcc          // addrVgpr = D + index*bytes (hi)
s_mov_b64 exec, -1                                 // full mask -1 -> exec

/* rC *= alpha batchElements=[(4, 0, 0, 0)] */
v_mul_f64 v[134:135], s[sgprAlpha+0:sgprAlpha+0+1], v[vgprValuC+16:vgprValuC+16+1] // 
v_mul_f64 v[136:137], s[sgprAlpha+2:sgprAlpha+2+1], v[vgprValuC+16:vgprValuC+16+1] // 
v_fma_f64 v[vgprValuC+148:vgprValuC+148+1], s[sgprAlpha+2:sgprAlpha+2+1], -v[vgprValuC+80:vgprValuC+80+1], v[134:135]
v_fma_f64 v[vgprValuC+148 +2:vgprValuC+148 +2+1], s[sgprAlpha+0:sgprAlpha+0+1], v[vgprValuC+80:vgprValuC+80+1], v[136:137]
s_waitcnt vmcnt(0)                                 // wait C

/* apply mask, calc new C and issue writes */
s_mov_b64 exec, s[46:47]                           // sgprs -> exec
v_fma_f64 v[vgprValuC+148:vgprValuC+148+1], v[144:145], s[sgprBeta+0:sgprBeta+0+1], v[vgprValuC+148:vgprValuC+148+1]
v_fma_f64 v[vgprValuC+148:vgprValuC+148+1], v[146:147], -s[sgprBeta+2:sgprBeta+2+1], v[vgprValuC+148:vgprValuC+148+1]
v_fma_f64 v[vgprValuC+150:vgprValuC+150+1], v[144:145], s[sgprBeta+2:sgprBeta+2+1], v[vgprValuC+150:vgprValuC+150+1]
v_fma_f64 v[vgprValuC+150:vgprValuC+150+1], v[146:147], s[sgprBeta+0:sgprBeta+0+1], v[vgprValuC+150:vgprValuC+150+1]
_global_store_b128 v[140:141], v[148:151], off     // store D
s_mov_b64 exec, -1                                 // full mask -> exec
s_nop 0                                            // 1 wait state required when next inst writes vgprs held by previous dwordx4 store inst
/* optSingleColVgpr=0 optSharedColVgpr=0 optSGPRUsage=None optSrdIncForRow=0 */

/******************************************/
/* Global Write Alpha Beta Edge Batch #9 (d1,d0,vc1,vc0) = */
/*    (4,1,0,0:vw1)                       */
/******************************************/

/* calc coords, apply mask, and issue loads (if necessary) */
/* (d1,vc1,d0,vc0)=(4,0,1,0) */
_v_add_co_u32 v134, vcc, v128, 64                  // coord0.1: coord0 += d0*sg0*VW + vc0
GLOBAL_OFFSET_C 140, 134, 129, sgprWorkGroup2, 136
v_mov_b32 v136, v140                               // temp store offset 0
v_mov_b32 v137, v141                               // temp store offset 1
v_cmp_lt_u32 s[42:43], v134, s[sgprSizesFree+0]    // coord0 < size0
v_cmp_lt_u32 s[44:45], v129, s[sgprSizesFree+1]    // coord1 < size1
s_and_b64 s[46:47], s[42:43], s[44:45]             // in0 && in1
s_mov_b64 exec, s[46:47]                           // sgprs -> exec
_v_add_co_u32 v140, vcc, v132, v136                // addrVgpr = C + index*bytes (lo)
_v_addc_co_u32 v141, vcc, v133, v137, vcc          // addrVgpr = C + index*bytes (hi)
_global_load_b128 v[144:147], v[140:141], off, offset:0 // load C for beta calc
GLOBAL_OFFSET_D 140, 134, 129, sgprWorkGroup2, 136
v_mov_b32 v136, v140                               // temp store offset 0
v_mov_b32 v137, v141                               // temp store offset 1
v_cmp_lt_u32 s[42:43], v134, s[sgprSizesFree+0]    // coord0 < size0
v_cmp_lt_u32 s[44:45], v129, s[sgprSizesFree+1]    // coord1 < size1
s_and_b64 s[46:47], s[42:43], s[44:45]             // in0 && in1
s_mov_b64 exec, s[46:47]                           // sgprs -> exec
_v_add_co_u32 v140, vcc, v130, v136                // addrVgpr = D + index*bytes (lo)
_v_addc_co_u32 v141, vcc, v131, v137, vcc          // addrVgpr = D + index*bytes (hi)
s_mov_b64 exec, -1                                 // full mask -1 -> exec

/* rC *= alpha batchElements=[(4, 1, 0, 0)] */
v_mul_f64 v[134:135], s[sgprAlpha+0:sgprAlpha+0+1], v[vgprValuC+24:vgprValuC+24+1] // 
v_mul_f64 v[136:137], s[sgprAlpha+2:sgprAlpha+2+1], v[vgprValuC+24:vgprValuC+24+1] // 
v_fma_f64 v[vgprValuC+148:vgprValuC+148+1], s[sgprAlpha+2:sgprAlpha+2+1], -v[vgprValuC+88:vgprValuC+88+1], v[134:135]
v_fma_f64 v[vgprValuC+148 +2:vgprValuC+148 +2+1], s[sgprAlpha+0:sgprAlpha+0+1], v[vgprValuC+88:vgprValuC+88+1], v[136:137]
s_waitcnt vmcnt(0)                                 // wait C

/* apply mask, calc new C and issue writes */
s_mov_b64 exec, s[46:47]                           // sgprs -> exec
v_fma_f64 v[vgprValuC+148:vgprValuC+148+1], v[144:145], s[sgprBeta+0:sgprBeta+0+1], v[vgprValuC+148:vgprValuC+148+1]
v_fma_f64 v[vgprValuC+148:vgprValuC+148+1], v[146:147], -s[sgprBeta+2:sgprBeta+2+1], v[vgprValuC+148:vgprValuC+148+1]
v_fma_f64 v[vgprValuC+150:vgprValuC+150+1], v[144:145], s[sgprBeta+2:sgprBeta+2+1], v[vgprValuC+150:vgprValuC+150+1]
v_fma_f64 v[vgprValuC+150:vgprValuC+150+1], v[146:147], s[sgprBeta+0:sgprBeta+0+1], v[vgprValuC+150:vgprValuC+150+1]
_global_store_b128 v[140:141], v[148:151], off     // store D
s_mov_b64 exec, -1                                 // full mask -> exec
s_nop 0                                            // 1 wait state required when next inst writes vgprs held by previous dwordx4 store inst
/* optSingleColVgpr=0 optSharedColVgpr=0 optSGPRUsage=None optSrdIncForRow=0 */

/******************************************/
/* Global Write Alpha Beta Edge Batch #10 (d1,d0,vc1,vc0) = */
/*    (5,0,0,0:vw1)                       */
/******************************************/

/* calc coords, apply mask, and issue loads (if necessary) */
/* (d1,vc1,d0,vc0)=(5,0,0,0) */
_v_add_co_u32 v129, vcc, v129, 4                   // coord1.1: coord1Vgpr += d1*sg1*VW + vc1
GLOBAL_OFFSET_C 140, 128, 129, sgprWorkGroup2, 136
v_mov_b32 v136, v140                               // temp store offset 0
v_mov_b32 v137, v141                               // temp store offset 1
v_cmp_lt_u32 s[42:43], v128, s[sgprSizesFree+0]    // coord0 < size0
v_cmp_lt_u32 s[44:45], v129, s[sgprSizesFree+1]    // coord1 < size1
s_and_b64 s[46:47], s[42:43], s[44:45]             // in0 && in1
s_mov_b64 exec, s[46:47]                           // sgprs -> exec
_v_add_co_u32 v140, vcc, v132, v136                // addrVgpr = C + index*bytes (lo)
_v_addc_co_u32 v141, vcc, v133, v137, vcc          // addrVgpr = C + index*bytes (hi)
_global_load_b128 v[144:147], v[140:141], off, offset:0 // load C for beta calc
GLOBAL_OFFSET_D 140, 128, 129, sgprWorkGroup2, 136
v_mov_b32 v136, v140                               // temp store offset 0
v_mov_b32 v137, v141                               // temp store offset 1
v_cmp_lt_u32 s[42:43], v128, s[sgprSizesFree+0]    // coord0 < size0
v_cmp_lt_u32 s[44:45], v129, s[sgprSizesFree+1]    // coord1 < size1
s_and_b64 s[46:47], s[42:43], s[44:45]             // in0 && in1
s_mov_b64 exec, s[46:47]                           // sgprs -> exec
_v_add_co_u32 v140, vcc, v130, v136                // addrVgpr = D + index*bytes (lo)
_v_addc_co_u32 v141, vcc, v131, v137, vcc          // addrVgpr = D + index*bytes (hi)
s_mov_b64 exec, -1                                 // full mask -1 -> exec

/* rC *= alpha batchElements=[(5, 0, 0, 0)] */
v_mul_f64 v[134:135], s[sgprAlpha+0:sgprAlpha+0+1], v[vgprValuC+18:vgprValuC+18+1] // 
v_mul_f64 v[136:137], s[sgprAlpha+2:sgprAlpha+2+1], v[vgprValuC+18:vgprValuC+18+1] // 
v_fma_f64 v[vgprValuC+148:vgprValuC+148+1], s[sgprAlpha+2:sgprAlpha+2+1], -v[vgprValuC+82:vgprValuC+82+1], v[134:135]
v_fma_f64 v[vgprValuC+148 +2:vgprValuC+148 +2+1], s[sgprAlpha+0:sgprAlpha+0+1], v[vgprValuC+82:vgprValuC+82+1], v[136:137]
s_waitcnt vmcnt(0)                                 // wait C

/* apply mask, calc new C and issue writes */
s_mov_b64 exec, s[46:47]                           // sgprs -> exec
v_fma_f64 v[vgprValuC+148:vgprValuC+148+1], v[144:145], s[sgprBeta+0:sgprBeta+0+1], v[vgprValuC+148:vgprValuC+148+1]
v_fma_f64 v[vgprValuC+148:vgprValuC+148+1], v[146:147], -s[sgprBeta+2:sgprBeta+2+1], v[vgprValuC+148:vgprValuC+148+1]
v_fma_f64 v[vgprValuC+150:vgprValuC+150+1], v[144:145], s[sgprBeta+2:sgprBeta+2+1], v[vgprValuC+150:vgprValuC+150+1]
v_fma_f64 v[vgprValuC+150:vgprValuC+150+1], v[146:147], s[sgprBeta+0:sgprBeta+0+1], v[vgprValuC+150:vgprValuC+150+1]
_global_store_b128 v[140:141], v[148:151], off     // store D
s_mov_b64 exec, -1                                 // full mask -> exec
s_nop 0                                            // 1 wait state required when next inst writes vgprs held by previous dwordx4 store inst
/* optSingleColVgpr=0 optSharedColVgpr=0 optSGPRUsage=None optSrdIncForRow=0 */

/******************************************/
/* Global Write Alpha Beta Edge Batch #11 (d1,d0,vc1,vc0) = */
/*    (5,1,0,0:vw1)                       */
/******************************************/

/* calc coords, apply mask, and issue loads (if necessary) */
/* (d1,vc1,d0,vc0)=(5,0,1,0) */
_v_add_co_u32 v134, vcc, v128, 64                  // coord0.1: coord0 += d0*sg0*VW + vc0
GLOBAL_OFFSET_C 140, 134, 129, sgprWorkGroup2, 136
v_mov_b32 v136, v140                               // temp store offset 0
v_mov_b32 v137, v141                               // temp store offset 1
v_cmp_lt_u32 s[42:43], v134, s[sgprSizesFree+0]    // coord0 < size0
v_cmp_lt_u32 s[44:45], v129, s[sgprSizesFree+1]    // coord1 < size1
s_and_b64 s[46:47], s[42:43], s[44:45]             // in0 && in1
s_mov_b64 exec, s[46:47]                           // sgprs -> exec
_v_add_co_u32 v140, vcc, v132, v136                // addrVgpr = C + index*bytes (lo)
_v_addc_co_u32 v141, vcc, v133, v137, vcc          // addrVgpr = C + index*bytes (hi)
_global_load_b128 v[144:147], v[140:141], off, offset:0 // load C for beta calc
GLOBAL_OFFSET_D 140, 134, 129, sgprWorkGroup2, 136
v_mov_b32 v136, v140                               // temp store offset 0
v_mov_b32 v137, v141                               // temp store offset 1
v_cmp_lt_u32 s[42:43], v134, s[sgprSizesFree+0]    // coord0 < size0
v_cmp_lt_u32 s[44:45], v129, s[sgprSizesFree+1]    // coord1 < size1
s_and_b64 s[46:47], s[42:43], s[44:45]             // in0 && in1
s_mov_b64 exec, s[46:47]                           // sgprs -> exec
_v_add_co_u32 v140, vcc, v130, v136                // addrVgpr = D + index*bytes (lo)
_v_addc_co_u32 v141, vcc, v131, v137, vcc          // addrVgpr = D + index*bytes (hi)
s_mov_b64 exec, -1                                 // full mask -1 -> exec

/* rC *= alpha batchElements=[(5, 1, 0, 0)] */
v_mul_f64 v[134:135], s[sgprAlpha+0:sgprAlpha+0+1], v[vgprValuC+26:vgprValuC+26+1] // 
v_mul_f64 v[136:137], s[sgprAlpha+2:sgprAlpha+2+1], v[vgprValuC+26:vgprValuC+26+1] // 
v_fma_f64 v[vgprValuC+148:vgprValuC+148+1], s[sgprAlpha+2:sgprAlpha+2+1], -v[vgprValuC+90:vgprValuC+90+1], v[134:135]
v_fma_f64 v[vgprValuC+148 +2:vgprValuC+148 +2+1], s[sgprAlpha+0:sgprAlpha+0+1], v[vgprValuC+90:vgprValuC+90+1], v[136:137]
s_waitcnt vmcnt(0)                                 // wait C

/* apply mask, calc new C and issue writes */
s_mov_b64 exec, s[46:47]                           // sgprs -> exec
v_fma_f64 v[vgprValuC+148:vgprValuC+148+1], v[144:145], s[sgprBeta+0:sgprBeta+0+1], v[vgprValuC+148:vgprValuC+148+1]
v_fma_f64 v[vgprValuC+148:vgprValuC+148+1], v[146:147], -s[sgprBeta+2:sgprBeta+2+1], v[vgprValuC+148:vgprValuC+148+1]
v_fma_f64 v[vgprValuC+150:vgprValuC+150+1], v[144:145], s[sgprBeta+2:sgprBeta+2+1], v[vgprValuC+150:vgprValuC+150+1]
v_fma_f64 v[vgprValuC+150:vgprValuC+150+1], v[146:147], s[sgprBeta+0:sgprBeta+0+1], v[vgprValuC+150:vgprValuC+150+1]
_global_store_b128 v[140:141], v[148:151], off     // store D
s_mov_b64 exec, -1                                 // full mask -> exec
s_nop 0                                            // 1 wait state required when next inst writes vgprs held by previous dwordx4 store inst
/* optSingleColVgpr=0 optSharedColVgpr=0 optSGPRUsage=None optSrdIncForRow=0 */

/******************************************/
/* Global Write Alpha Beta Edge Batch #12 (d1,d0,vc1,vc0) = */
/*    (6,0,0,0:vw1)                       */
/******************************************/

/* calc coords, apply mask, and issue loads (if necessary) */
/* (d1,vc1,d0,vc0)=(6,0,0,0) */
_v_add_co_u32 v129, vcc, v129, 4                   // coord1.1: coord1Vgpr += d1*sg1*VW + vc1
GLOBAL_OFFSET_C 140, 128, 129, sgprWorkGroup2, 136
v_mov_b32 v136, v140                               // temp store offset 0
v_mov_b32 v137, v141                               // temp store offset 1
v_cmp_lt_u32 s[42:43], v128, s[sgprSizesFree+0]    // coord0 < size0
v_cmp_lt_u32 s[44:45], v129, s[sgprSizesFree+1]    // coord1 < size1
s_and_b64 s[46:47], s[42:43], s[44:45]             // in0 && in1
s_mov_b64 exec, s[46:47]                           // sgprs -> exec
_v_add_co_u32 v140, vcc, v132, v136                // addrVgpr = C + index*bytes (lo)
_v_addc_co_u32 v141, vcc, v133, v137, vcc          // addrVgpr = C + index*bytes (hi)
_global_load_b128 v[144:147], v[140:141], off, offset:0 // load C for beta calc
GLOBAL_OFFSET_D 140, 128, 129, sgprWorkGroup2, 136
v_mov_b32 v136, v140                               // temp store offset 0
v_mov_b32 v137, v141                               // temp store offset 1
v_cmp_lt_u32 s[42:43], v128, s[sgprSizesFree+0]    // coord0 < size0
v_cmp_lt_u32 s[44:45], v129, s[sgprSizesFree+1]    // coord1 < size1
s_and_b64 s[46:47], s[42:43], s[44:45]             // in0 && in1
s_mov_b64 exec, s[46:47]                           // sgprs -> exec
_v_add_co_u32 v140, vcc, v130, v136                // addrVgpr = D + index*bytes (lo)
_v_addc_co_u32 v141, vcc, v131, v137, vcc          // addrVgpr = D + index*bytes (hi)
s_mov_b64 exec, -1                                 // full mask -1 -> exec

/* rC *= alpha batchElements=[(6, 0, 0, 0)] */
v_mul_f64 v[134:135], s[sgprAlpha+0:sgprAlpha+0+1], v[vgprValuC+20:vgprValuC+20+1] // 
v_mul_f64 v[136:137], s[sgprAlpha+2:sgprAlpha+2+1], v[vgprValuC+20:vgprValuC+20+1] // 
v_fma_f64 v[vgprValuC+148:vgprValuC+148+1], s[sgprAlpha+2:sgprAlpha+2+1], -v[vgprValuC+84:vgprValuC+84+1], v[134:135]
v_fma_f64 v[vgprValuC+148 +2:vgprValuC+148 +2+1], s[sgprAlpha+0:sgprAlpha+0+1], v[vgprValuC+84:vgprValuC+84+1], v[136:137]
s_waitcnt vmcnt(0)                                 // wait C

/* apply mask, calc new C and issue writes */
s_mov_b64 exec, s[46:47]                           // sgprs -> exec
v_fma_f64 v[vgprValuC+148:vgprValuC+148+1], v[144:145], s[sgprBeta+0:sgprBeta+0+1], v[vgprValuC+148:vgprValuC+148+1]
v_fma_f64 v[vgprValuC+148:vgprValuC+148+1], v[146:147], -s[sgprBeta+2:sgprBeta+2+1], v[vgprValuC+148:vgprValuC+148+1]
v_fma_f64 v[vgprValuC+150:vgprValuC+150+1], v[144:145], s[sgprBeta+2:sgprBeta+2+1], v[vgprValuC+150:vgprValuC+150+1]
v_fma_f64 v[vgprValuC+150:vgprValuC+150+1], v[146:147], s[sgprBeta+0:sgprBeta+0+1], v[vgprValuC+150:vgprValuC+150+1]
_global_store_b128 v[140:141], v[148:151], off     // store D
s_mov_b64 exec, -1                                 // full mask -> exec
s_nop 0                                            // 1 wait state required when next inst writes vgprs held by previous dwordx4 store inst
/* optSingleColVgpr=0 optSharedColVgpr=0 optSGPRUsage=None optSrdIncForRow=0 */

/******************************************/
/* Global Write Alpha Beta Edge Batch #13 (d1,d0,vc1,vc0) = */
/*    (6,1,0,0:vw1)                       */
/******************************************/

/* calc coords, apply mask, and issue loads (if necessary) */
/* (d1,vc1,d0,vc0)=(6,0,1,0) */
_v_add_co_u32 v134, vcc, v128, 64                  // coord0.1: coord0 += d0*sg0*VW + vc0
GLOBAL_OFFSET_C 140, 134, 129, sgprWorkGroup2, 136
v_mov_b32 v136, v140                               // temp store offset 0
v_mov_b32 v137, v141                               // temp store offset 1
v_cmp_lt_u32 s[42:43], v134, s[sgprSizesFree+0]    // coord0 < size0
v_cmp_lt_u32 s[44:45], v129, s[sgprSizesFree+1]    // coord1 < size1
s_and_b64 s[46:47], s[42:43], s[44:45]             // in0 && in1
s_mov_b64 exec, s[46:47]                           // sgprs -> exec
_v_add_co_u32 v140, vcc, v132, v136                // addrVgpr = C + index*bytes (lo)
_v_addc_co_u32 v141, vcc, v133, v137, vcc          // addrVgpr = C + index*bytes (hi)
_global_load_b128 v[144:147], v[140:141], off, offset:0 // load C for beta calc
GLOBAL_OFFSET_D 140, 134, 129, sgprWorkGroup2, 136
v_mov_b32 v136, v140                               // temp store offset 0
v_mov_b32 v137, v141                               // temp store offset 1
v_cmp_lt_u32 s[42:43], v134, s[sgprSizesFree+0]    // coord0 < size0
v_cmp_lt_u32 s[44:45], v129, s[sgprSizesFree+1]    // coord1 < size1
s_and_b64 s[46:47], s[42:43], s[44:45]             // in0 && in1
s_mov_b64 exec, s[46:47]                           // sgprs -> exec
_v_add_co_u32 v140, vcc, v130, v136                // addrVgpr = D + index*bytes (lo)
_v_addc_co_u32 v141, vcc, v131, v137, vcc          // addrVgpr = D + index*bytes (hi)
s_mov_b64 exec, -1                                 // full mask -1 -> exec

/* rC *= alpha batchElements=[(6, 1, 0, 0)] */
v_mul_f64 v[134:135], s[sgprAlpha+0:sgprAlpha+0+1], v[vgprValuC+28:vgprValuC+28+1] // 
v_mul_f64 v[136:137], s[sgprAlpha+2:sgprAlpha+2+1], v[vgprValuC+28:vgprValuC+28+1] // 
v_fma_f64 v[vgprValuC+148:vgprValuC+148+1], s[sgprAlpha+2:sgprAlpha+2+1], -v[vgprValuC+92:vgprValuC+92+1], v[134:135]
v_fma_f64 v[vgprValuC+148 +2:vgprValuC+148 +2+1], s[sgprAlpha+0:sgprAlpha+0+1], v[vgprValuC+92:vgprValuC+92+1], v[136:137]
s_waitcnt vmcnt(0)                                 // wait C

/* apply mask, calc new C and issue writes */
s_mov_b64 exec, s[46:47]                           // sgprs -> exec
v_fma_f64 v[vgprValuC+148:vgprValuC+148+1], v[144:145], s[sgprBeta+0:sgprBeta+0+1], v[vgprValuC+148:vgprValuC+148+1]
v_fma_f64 v[vgprValuC+148:vgprValuC+148+1], v[146:147], -s[sgprBeta+2:sgprBeta+2+1], v[vgprValuC+148:vgprValuC+148+1]
v_fma_f64 v[vgprValuC+150:vgprValuC+150+1], v[144:145], s[sgprBeta+2:sgprBeta+2+1], v[vgprValuC+150:vgprValuC+150+1]
v_fma_f64 v[vgprValuC+150:vgprValuC+150+1], v[146:147], s[sgprBeta+0:sgprBeta+0+1], v[vgprValuC+150:vgprValuC+150+1]
_global_store_b128 v[140:141], v[148:151], off     // store D
s_mov_b64 exec, -1                                 // full mask -> exec
s_nop 0                                            // 1 wait state required when next inst writes vgprs held by previous dwordx4 store inst
/* optSingleColVgpr=0 optSharedColVgpr=0 optSGPRUsage=None optSrdIncForRow=0 */

/******************************************/
/* Global Write Alpha Beta Edge Batch #14 (d1,d0,vc1,vc0) = */
/*    (7,0,0,0:vw1)                       */
/******************************************/

/* calc coords, apply mask, and issue loads (if necessary) */
/* (d1,vc1,d0,vc0)=(7,0,0,0) */
_v_add_co_u32 v129, vcc, v129, 4                   // coord1.1: coord1Vgpr += d1*sg1*VW + vc1
GLOBAL_OFFSET_C 140, 128, 129, sgprWorkGroup2, 136
v_mov_b32 v136, v140                               // temp store offset 0
v_mov_b32 v137, v141                               // temp store offset 1
v_cmp_lt_u32 s[42:43], v128, s[sgprSizesFree+0]    // coord0 < size0
v_cmp_lt_u32 s[44:45], v129, s[sgprSizesFree+1]    // coord1 < size1
s_and_b64 s[46:47], s[42:43], s[44:45]             // in0 && in1
s_mov_b64 exec, s[46:47]                           // sgprs -> exec
_v_add_co_u32 v140, vcc, v132, v136                // addrVgpr = C + index*bytes (lo)
_v_addc_co_u32 v141, vcc, v133, v137, vcc          // addrVgpr = C + index*bytes (hi)
_global_load_b128 v[144:147], v[140:141], off, offset:0 // load C for beta calc
GLOBAL_OFFSET_D 140, 128, 129, sgprWorkGroup2, 136
v_mov_b32 v136, v140                               // temp store offset 0
v_mov_b32 v137, v141                               // temp store offset 1
v_cmp_lt_u32 s[42:43], v128, s[sgprSizesFree+0]    // coord0 < size0
v_cmp_lt_u32 s[44:45], v129, s[sgprSizesFree+1]    // coord1 < size1
s_and_b64 s[46:47], s[42:43], s[44:45]             // in0 && in1
s_mov_b64 exec, s[46:47]                           // sgprs -> exec
_v_add_co_u32 v140, vcc, v130, v136                // addrVgpr = D + index*bytes (lo)
_v_addc_co_u32 v141, vcc, v131, v137, vcc          // addrVgpr = D + index*bytes (hi)
s_mov_b64 exec, -1                                 // full mask -1 -> exec

/* rC *= alpha batchElements=[(7, 0, 0, 0)] */
v_mul_f64 v[134:135], s[sgprAlpha+0:sgprAlpha+0+1], v[vgprValuC+22:vgprValuC+22+1] // 
v_mul_f64 v[136:137], s[sgprAlpha+2:sgprAlpha+2+1], v[vgprValuC+22:vgprValuC+22+1] // 
v_fma_f64 v[vgprValuC+148:vgprValuC+148+1], s[sgprAlpha+2:sgprAlpha+2+1], -v[vgprValuC+86:vgprValuC+86+1], v[134:135]
v_fma_f64 v[vgprValuC+148 +2:vgprValuC+148 +2+1], s[sgprAlpha+0:sgprAlpha+0+1], v[vgprValuC+86:vgprValuC+86+1], v[136:137]
s_waitcnt vmcnt(0)                                 // wait C

/* apply mask, calc new C and issue writes */
s_mov_b64 exec, s[46:47]                           // sgprs -> exec
v_fma_f64 v[vgprValuC+148:vgprValuC+148+1], v[144:145], s[sgprBeta+0:sgprBeta+0+1], v[vgprValuC+148:vgprValuC+148+1]
v_fma_f64 v[vgprValuC+148:vgprValuC+148+1], v[146:147], -s[sgprBeta+2:sgprBeta+2+1], v[vgprValuC+148:vgprValuC+148+1]
v_fma_f64 v[vgprValuC+150:vgprValuC+150+1], v[144:145], s[sgprBeta+2:sgprBeta+2+1], v[vgprValuC+150:vgprValuC+150+1]
v_fma_f64 v[vgprValuC+150:vgprValuC+150+1], v[146:147], s[sgprBeta+0:sgprBeta+0+1], v[vgprValuC+150:vgprValuC+150+1]
_global_store_b128 v[140:141], v[148:151], off     // store D
s_mov_b64 exec, -1                                 // full mask -> exec
s_nop 0                                            // 1 wait state required when next inst writes vgprs held by previous dwordx4 store inst
/* optSingleColVgpr=0 optSharedColVgpr=0 optSGPRUsage=None optSrdIncForRow=0 */

/******************************************/
/* Global Write Alpha Beta Edge Batch #15 (d1,d0,vc1,vc0) = */
/*    (7,1,0,0:vw1)                       */
/******************************************/

/* calc coords, apply mask, and issue loads (if necessary) */
/* (d1,vc1,d0,vc0)=(7,0,1,0) */
_v_add_co_u32 v134, vcc, v128, 64                  // coord0.1: coord0 += d0*sg0*VW + vc0
GLOBAL_OFFSET_C 140, 134, 129, sgprWorkGroup2, 136
v_mov_b32 v136, v140                               // temp store offset 0
v_mov_b32 v137, v141                               // temp store offset 1
v_cmp_lt_u32 s[42:43], v134, s[sgprSizesFree+0]    // coord0 < size0
v_cmp_lt_u32 s[44:45], v129, s[sgprSizesFree+1]    // coord1 < size1
s_and_b64 s[46:47], s[42:43], s[44:45]             // in0 && in1
s_mov_b64 exec, s[46:47]                           // sgprs -> exec
_v_add_co_u32 v140, vcc, v132, v136                // addrVgpr = C + index*bytes (lo)
_v_addc_co_u32 v141, vcc, v133, v137, vcc          // addrVgpr = C + index*bytes (hi)
_global_load_b128 v[144:147], v[140:141], off, offset:0 // load C for beta calc
GLOBAL_OFFSET_D 140, 134, 129, sgprWorkGroup2, 136
v_mov_b32 v136, v140                               // temp store offset 0
v_mov_b32 v137, v141                               // temp store offset 1
v_cmp_lt_u32 s[42:43], v134, s[sgprSizesFree+0]    // coord0 < size0
v_cmp_lt_u32 s[44:45], v129, s[sgprSizesFree+1]    // coord1 < size1
s_and_b64 s[46:47], s[42:43], s[44:45]             // in0 && in1
s_mov_b64 exec, s[46:47]                           // sgprs -> exec
_v_add_co_u32 v140, vcc, v130, v136                // addrVgpr = D + index*bytes (lo)
_v_addc_co_u32 v141, vcc, v131, v137, vcc          // addrVgpr = D + index*bytes (hi)
s_mov_b64 exec, -1                                 // full mask -1 -> exec

/* rC *= alpha batchElements=[(7, 1, 0, 0)] */
v_mul_f64 v[134:135], s[sgprAlpha+0:sgprAlpha+0+1], v[vgprValuC+30:vgprValuC+30+1] // 
v_mul_f64 v[136:137], s[sgprAlpha+2:sgprAlpha+2+1], v[vgprValuC+30:vgprValuC+30+1] // 
v_fma_f64 v[vgprValuC+148:vgprValuC+148+1], s[sgprAlpha+2:sgprAlpha+2+1], -v[vgprValuC+94:vgprValuC+94+1], v[134:135]
v_fma_f64 v[vgprValuC+148 +2:vgprValuC+148 +2+1], s[sgprAlpha+0:sgprAlpha+0+1], v[vgprValuC+94:vgprValuC+94+1], v[136:137]
s_waitcnt vmcnt(0)                                 // wait C

/* apply mask, calc new C and issue writes */
s_mov_b64 exec, s[46:47]                           // sgprs -> exec
v_fma_f64 v[vgprValuC+148:vgprValuC+148+1], v[144:145], s[sgprBeta+0:sgprBeta+0+1], v[vgprValuC+148:vgprValuC+148+1]
v_fma_f64 v[vgprValuC+148:vgprValuC+148+1], v[146:147], -s[sgprBeta+2:sgprBeta+2+1], v[vgprValuC+148:vgprValuC+148+1]
v_fma_f64 v[vgprValuC+150:vgprValuC+150+1], v[144:145], s[sgprBeta+2:sgprBeta+2+1], v[vgprValuC+150:vgprValuC+150+1]
v_fma_f64 v[vgprValuC+150:vgprValuC+150+1], v[146:147], s[sgprBeta+0:sgprBeta+0+1], v[vgprValuC+150:vgprValuC+150+1]
_global_store_b128 v[140:141], v[148:151], off     // store D
s_mov_b64 exec, -1                                 // full mask -> exec
s_nop 0                                            // 1 wait state required when next inst writes vgprs held by previous dwordx4 store inst
/* optSingleColVgpr=0 optSharedColVgpr=0 optSGPRUsage=None optSrdIncForRow=0 */

/******************************************/
/* Global Write Alpha Beta Edge Batch #16 (d1,d0,vc1,vc0) = */
/*    (8,0,0,0:vw1)                       */
/******************************************/

/* calc coords, apply mask, and issue loads (if necessary) */
/* (d1,vc1,d0,vc0)=(8,0,0,0) */
_v_add_co_u32 v129, vcc, v129, 4                   // coord1.1: coord1Vgpr += d1*sg1*VW + vc1
GLOBAL_OFFSET_C 140, 128, 129, sgprWorkGroup2, 136
v_mov_b32 v136, v140                               // temp store offset 0
v_mov_b32 v137, v141                               // temp store offset 1
v_cmp_lt_u32 s[42:43], v128, s[sgprSizesFree+0]    // coord0 < size0
v_cmp_lt_u32 s[44:45], v129, s[sgprSizesFree+1]    // coord1 < size1
s_and_b64 s[46:47], s[42:43], s[44:45]             // in0 && in1
s_mov_b64 exec, s[46:47]                           // sgprs -> exec
_v_add_co_u32 v140, vcc, v132, v136                // addrVgpr = C + index*bytes (lo)
_v_addc_co_u32 v141, vcc, v133, v137, vcc          // addrVgpr = C + index*bytes (hi)
_global_load_b128 v[144:147], v[140:141], off, offset:0 // load C for beta calc
GLOBAL_OFFSET_D 140, 128, 129, sgprWorkGroup2, 136
v_mov_b32 v136, v140                               // temp store offset 0
v_mov_b32 v137, v141                               // temp store offset 1
v_cmp_lt_u32 s[42:43], v128, s[sgprSizesFree+0]    // coord0 < size0
v_cmp_lt_u32 s[44:45], v129, s[sgprSizesFree+1]    // coord1 < size1
s_and_b64 s[46:47], s[42:43], s[44:45]             // in0 && in1
s_mov_b64 exec, s[46:47]                           // sgprs -> exec
_v_add_co_u32 v140, vcc, v130, v136                // addrVgpr = D + index*bytes (lo)
_v_addc_co_u32 v141, vcc, v131, v137, vcc          // addrVgpr = D + index*bytes (hi)
s_mov_b64 exec, -1                                 // full mask -1 -> exec

/* rC *= alpha batchElements=[(8, 0, 0, 0)] */
v_mul_f64 v[134:135], s[sgprAlpha+0:sgprAlpha+0+1], v[vgprValuC+32:vgprValuC+32+1] // 
v_mul_f64 v[136:137], s[sgprAlpha+2:sgprAlpha+2+1], v[vgprValuC+32:vgprValuC+32+1] // 
v_fma_f64 v[vgprValuC+148:vgprValuC+148+1], s[sgprAlpha+2:sgprAlpha+2+1], -v[vgprValuC+96:vgprValuC+96+1], v[134:135]
v_fma_f64 v[vgprValuC+148 +2:vgprValuC+148 +2+1], s[sgprAlpha+0:sgprAlpha+0+1], v[vgprValuC+96:vgprValuC+96+1], v[136:137]
s_waitcnt vmcnt(0)                                 // wait C

/* apply mask, calc new C and issue writes */
s_mov_b64 exec, s[46:47]                           // sgprs -> exec
v_fma_f64 v[vgprValuC+148:vgprValuC+148+1], v[144:145], s[sgprBeta+0:sgprBeta+0+1], v[vgprValuC+148:vgprValuC+148+1]
v_fma_f64 v[vgprValuC+148:vgprValuC+148+1], v[146:147], -s[sgprBeta+2:sgprBeta+2+1], v[vgprValuC+148:vgprValuC+148+1]
v_fma_f64 v[vgprValuC+150:vgprValuC+150+1], v[144:145], s[sgprBeta+2:sgprBeta+2+1], v[vgprValuC+150:vgprValuC+150+1]
v_fma_f64 v[vgprValuC+150:vgprValuC+150+1], v[146:147], s[sgprBeta+0:sgprBeta+0+1], v[vgprValuC+150:vgprValuC+150+1]
_global_store_b128 v[140:141], v[148:151], off     // store D
s_mov_b64 exec, -1                                 // full mask -> exec
s_nop 0                                            // 1 wait state required when next inst writes vgprs held by previous dwordx4 store inst
/* optSingleColVgpr=0 optSharedColVgpr=0 optSGPRUsage=None optSrdIncForRow=0 */

/******************************************/
/* Global Write Alpha Beta Edge Batch #17 (d1,d0,vc1,vc0) = */
/*    (8,1,0,0:vw1)                       */
/******************************************/

/* calc coords, apply mask, and issue loads (if necessary) */
/* (d1,vc1,d0,vc0)=(8,0,1,0) */
_v_add_co_u32 v134, vcc, v128, 64                  // coord0.1: coord0 += d0*sg0*VW + vc0
GLOBAL_OFFSET_C 140, 134, 129, sgprWorkGroup2, 136
v_mov_b32 v136, v140                               // temp store offset 0
v_mov_b32 v137, v141                               // temp store offset 1
v_cmp_lt_u32 s[42:43], v134, s[sgprSizesFree+0]    // coord0 < size0
v_cmp_lt_u32 s[44:45], v129, s[sgprSizesFree+1]    // coord1 < size1
s_and_b64 s[46:47], s[42:43], s[44:45]             // in0 && in1
s_mov_b64 exec, s[46:47]                           // sgprs -> exec
_v_add_co_u32 v140, vcc, v132, v136                // addrVgpr = C + index*bytes (lo)
_v_addc_co_u32 v141, vcc, v133, v137, vcc          // addrVgpr = C + index*bytes (hi)
_global_load_b128 v[144:147], v[140:141], off, offset:0 // load C for beta calc
GLOBAL_OFFSET_D 140, 134, 129, sgprWorkGroup2, 136
v_mov_b32 v136, v140                               // temp store offset 0
v_mov_b32 v137, v141                               // temp store offset 1
v_cmp_lt_u32 s[42:43], v134, s[sgprSizesFree+0]    // coord0 < size0
v_cmp_lt_u32 s[44:45], v129, s[sgprSizesFree+1]    // coord1 < size1
s_and_b64 s[46:47], s[42:43], s[44:45]             // in0 && in1
s_mov_b64 exec, s[46:47]                           // sgprs -> exec
_v_add_co_u32 v140, vcc, v130, v136                // addrVgpr = D + index*bytes (lo)
_v_addc_co_u32 v141, vcc, v131, v137, vcc          // addrVgpr = D + index*bytes (hi)
s_mov_b64 exec, -1                                 // full mask -1 -> exec

/* rC *= alpha batchElements=[(8, 1, 0, 0)] */
v_mul_f64 v[134:135], s[sgprAlpha+0:sgprAlpha+0+1], v[vgprValuC+40:vgprValuC+40+1] // 
v_mul_f64 v[136:137], s[sgprAlpha+2:sgprAlpha+2+1], v[vgprValuC+40:vgprValuC+40+1] // 
v_fma_f64 v[vgprValuC+148:vgprValuC+148+1], s[sgprAlpha+2:sgprAlpha+2+1], -v[vgprValuC+104:vgprValuC+104+1], v[134:135]
v_fma_f64 v[vgprValuC+148 +2:vgprValuC+148 +2+1], s[sgprAlpha+0:sgprAlpha+0+1], v[vgprValuC+104:vgprValuC+104+1], v[136:137]
s_waitcnt vmcnt(0)                                 // wait C

/* apply mask, calc new C and issue writes */
s_mov_b64 exec, s[46:47]                           // sgprs -> exec
v_fma_f64 v[vgprValuC+148:vgprValuC+148+1], v[144:145], s[sgprBeta+0:sgprBeta+0+1], v[vgprValuC+148:vgprValuC+148+1]
v_fma_f64 v[vgprValuC+148:vgprValuC+148+1], v[146:147], -s[sgprBeta+2:sgprBeta+2+1], v[vgprValuC+148:vgprValuC+148+1]
v_fma_f64 v[vgprValuC+150:vgprValuC+150+1], v[144:145], s[sgprBeta+2:sgprBeta+2+1], v[vgprValuC+150:vgprValuC+150+1]
v_fma_f64 v[vgprValuC+150:vgprValuC+150+1], v[146:147], s[sgprBeta+0:sgprBeta+0+1], v[vgprValuC+150:vgprValuC+150+1]
_global_store_b128 v[140:141], v[148:151], off     // store D
s_mov_b64 exec, -1                                 // full mask -> exec
s_nop 0                                            // 1 wait state required when next inst writes vgprs held by previous dwordx4 store inst
/* optSingleColVgpr=0 optSharedColVgpr=0 optSGPRUsage=None optSrdIncForRow=0 */

/******************************************/
/* Global Write Alpha Beta Edge Batch #18 (d1,d0,vc1,vc0) = */
/*    (9,0,0,0:vw1)                       */
/******************************************/

/* calc coords, apply mask, and issue loads (if necessary) */
/* (d1,vc1,d0,vc0)=(9,0,0,0) */
_v_add_co_u32 v129, vcc, v129, 4                   // coord1.1: coord1Vgpr += d1*sg1*VW + vc1
GLOBAL_OFFSET_C 140, 128, 129, sgprWorkGroup2, 136
v_mov_b32 v136, v140                               // temp store offset 0
v_mov_b32 v137, v141                               // temp store offset 1
v_cmp_lt_u32 s[42:43], v128, s[sgprSizesFree+0]    // coord0 < size0
v_cmp_lt_u32 s[44:45], v129, s[sgprSizesFree+1]    // coord1 < size1
s_and_b64 s[46:47], s[42:43], s[44:45]             // in0 && in1
s_mov_b64 exec, s[46:47]                           // sgprs -> exec
_v_add_co_u32 v140, vcc, v132, v136                // addrVgpr = C + index*bytes (lo)
_v_addc_co_u32 v141, vcc, v133, v137, vcc          // addrVgpr = C + index*bytes (hi)
_global_load_b128 v[144:147], v[140:141], off, offset:0 // load C for beta calc
GLOBAL_OFFSET_D 140, 128, 129, sgprWorkGroup2, 136
v_mov_b32 v136, v140                               // temp store offset 0
v_mov_b32 v137, v141                               // temp store offset 1
v_cmp_lt_u32 s[42:43], v128, s[sgprSizesFree+0]    // coord0 < size0
v_cmp_lt_u32 s[44:45], v129, s[sgprSizesFree+1]    // coord1 < size1
s_and_b64 s[46:47], s[42:43], s[44:45]             // in0 && in1
s_mov_b64 exec, s[46:47]                           // sgprs -> exec
_v_add_co_u32 v140, vcc, v130, v136                // addrVgpr = D + index*bytes (lo)
_v_addc_co_u32 v141, vcc, v131, v137, vcc          // addrVgpr = D + index*bytes (hi)
s_mov_b64 exec, -1                                 // full mask -1 -> exec

/* rC *= alpha batchElements=[(9, 0, 0, 0)] */
v_mul_f64 v[134:135], s[sgprAlpha+0:sgprAlpha+0+1], v[vgprValuC+34:vgprValuC+34+1] // 
v_mul_f64 v[136:137], s[sgprAlpha+2:sgprAlpha+2+1], v[vgprValuC+34:vgprValuC+34+1] // 
v_fma_f64 v[vgprValuC+148:vgprValuC+148+1], s[sgprAlpha+2:sgprAlpha+2+1], -v[vgprValuC+98:vgprValuC+98+1], v[134:135]
v_fma_f64 v[vgprValuC+148 +2:vgprValuC+148 +2+1], s[sgprAlpha+0:sgprAlpha+0+1], v[vgprValuC+98:vgprValuC+98+1], v[136:137]
s_waitcnt vmcnt(0)                                 // wait C

/* apply mask, calc new C and issue writes */
s_mov_b64 exec, s[46:47]                           // sgprs -> exec
v_fma_f64 v[vgprValuC+148:vgprValuC+148+1], v[144:145], s[sgprBeta+0:sgprBeta+0+1], v[vgprValuC+148:vgprValuC+148+1]
v_fma_f64 v[vgprValuC+148:vgprValuC+148+1], v[146:147], -s[sgprBeta+2:sgprBeta+2+1], v[vgprValuC+148:vgprValuC+148+1]
v_fma_f64 v[vgprValuC+150:vgprValuC+150+1], v[144:145], s[sgprBeta+2:sgprBeta+2+1], v[vgprValuC+150:vgprValuC+150+1]
v_fma_f64 v[vgprValuC+150:vgprValuC+150+1], v[146:147], s[sgprBeta+0:sgprBeta+0+1], v[vgprValuC+150:vgprValuC+150+1]
_global_store_b128 v[140:141], v[148:151], off     // store D
s_mov_b64 exec, -1                                 // full mask -> exec
s_nop 0                                            // 1 wait state required when next inst writes vgprs held by previous dwordx4 store inst
/* optSingleColVgpr=0 optSharedColVgpr=0 optSGPRUsage=None optSrdIncForRow=0 */

/******************************************/
/* Global Write Alpha Beta Edge Batch #19 (d1,d0,vc1,vc0) = */
/*    (9,1,0,0:vw1)                       */
/******************************************/

/* calc coords, apply mask, and issue loads (if necessary) */
/* (d1,vc1,d0,vc0)=(9,0,1,0) */
_v_add_co_u32 v134, vcc, v128, 64                  // coord0.1: coord0 += d0*sg0*VW + vc0
GLOBAL_OFFSET_C 140, 134, 129, sgprWorkGroup2, 136
v_mov_b32 v136, v140                               // temp store offset 0
v_mov_b32 v137, v141                               // temp store offset 1
v_cmp_lt_u32 s[42:43], v134, s[sgprSizesFree+0]    // coord0 < size0
v_cmp_lt_u32 s[44:45], v129, s[sgprSizesFree+1]    // coord1 < size1
s_and_b64 s[46:47], s[42:43], s[44:45]             // in0 && in1
s_mov_b64 exec, s[46:47]                           // sgprs -> exec
_v_add_co_u32 v140, vcc, v132, v136                // addrVgpr = C + index*bytes (lo)
_v_addc_co_u32 v141, vcc, v133, v137, vcc          // addrVgpr = C + index*bytes (hi)
_global_load_b128 v[144:147], v[140:141], off, offset:0 // load C for beta calc
GLOBAL_OFFSET_D 140, 134, 129, sgprWorkGroup2, 136
v_mov_b32 v136, v140                               // temp store offset 0
v_mov_b32 v137, v141                               // temp store offset 1
v_cmp_lt_u32 s[42:43], v134, s[sgprSizesFree+0]    // coord0 < size0
v_cmp_lt_u32 s[44:45], v129, s[sgprSizesFree+1]    // coord1 < size1
s_and_b64 s[46:47], s[42:43], s[44:45]             // in0 && in1
s_mov_b64 exec, s[46:47]                           // sgprs -> exec
_v_add_co_u32 v140, vcc, v130, v136                // addrVgpr = D + index*bytes (lo)
_v_addc_co_u32 v141, vcc, v131, v137, vcc          // addrVgpr = D + index*bytes (hi)
s_mov_b64 exec, -1                                 // full mask -1 -> exec

/* rC *= alpha batchElements=[(9, 1, 0, 0)] */
v_mul_f64 v[134:135], s[sgprAlpha+0:sgprAlpha+0+1], v[vgprValuC+42:vgprValuC+42+1] // 
v_mul_f64 v[136:137], s[sgprAlpha+2:sgprAlpha+2+1], v[vgprValuC+42:vgprValuC+42+1] // 
v_fma_f64 v[vgprValuC+148:vgprValuC+148+1], s[sgprAlpha+2:sgprAlpha+2+1], -v[vgprValuC+106:vgprValuC+106+1], v[134:135]
v_fma_f64 v[vgprValuC+148 +2:vgprValuC+148 +2+1], s[sgprAlpha+0:sgprAlpha+0+1], v[vgprValuC+106:vgprValuC+106+1], v[136:137]
s_waitcnt vmcnt(0)                                 // wait C

/* apply mask, calc new C and issue writes */
s_mov_b64 exec, s[46:47]                           // sgprs -> exec
v_fma_f64 v[vgprValuC+148:vgprValuC+148+1], v[144:145], s[sgprBeta+0:sgprBeta+0+1], v[vgprValuC+148:vgprValuC+148+1]
v_fma_f64 v[vgprValuC+148:vgprValuC+148+1], v[146:147], -s[sgprBeta+2:sgprBeta+2+1], v[vgprValuC+148:vgprValuC+148+1]
v_fma_f64 v[vgprValuC+150:vgprValuC+150+1], v[144:145], s[sgprBeta+2:sgprBeta+2+1], v[vgprValuC+150:vgprValuC+150+1]
v_fma_f64 v[vgprValuC+150:vgprValuC+150+1], v[146:147], s[sgprBeta+0:sgprBeta+0+1], v[vgprValuC+150:vgprValuC+150+1]
_global_store_b128 v[140:141], v[148:151], off     // store D
s_mov_b64 exec, -1                                 // full mask -> exec
s_nop 0                                            // 1 wait state required when next inst writes vgprs held by previous dwordx4 store inst
/* optSingleColVgpr=0 optSharedColVgpr=0 optSGPRUsage=None optSrdIncForRow=0 */

/******************************************/
/* Global Write Alpha Beta Edge Batch #20 (d1,d0,vc1,vc0) = */
/*    (10,0,0,0:vw1)                      */
/******************************************/

/* calc coords, apply mask, and issue loads (if necessary) */
/* (d1,vc1,d0,vc0)=(10,0,0,0) */
_v_add_co_u32 v129, vcc, v129, 4                   // coord1.1: coord1Vgpr += d1*sg1*VW + vc1
GLOBAL_OFFSET_C 140, 128, 129, sgprWorkGroup2, 136
v_mov_b32 v136, v140                               // temp store offset 0
v_mov_b32 v137, v141                               // temp store offset 1
v_cmp_lt_u32 s[42:43], v128, s[sgprSizesFree+0]    // coord0 < size0
v_cmp_lt_u32 s[44:45], v129, s[sgprSizesFree+1]    // coord1 < size1
s_and_b64 s[46:47], s[42:43], s[44:45]             // in0 && in1
s_mov_b64 exec, s[46:47]                           // sgprs -> exec
_v_add_co_u32 v140, vcc, v132, v136                // addrVgpr = C + index*bytes (lo)
_v_addc_co_u32 v141, vcc, v133, v137, vcc          // addrVgpr = C + index*bytes (hi)
_global_load_b128 v[144:147], v[140:141], off, offset:0 // load C for beta calc
GLOBAL_OFFSET_D 140, 128, 129, sgprWorkGroup2, 136
v_mov_b32 v136, v140                               // temp store offset 0
v_mov_b32 v137, v141                               // temp store offset 1
v_cmp_lt_u32 s[42:43], v128, s[sgprSizesFree+0]    // coord0 < size0
v_cmp_lt_u32 s[44:45], v129, s[sgprSizesFree+1]    // coord1 < size1
s_and_b64 s[46:47], s[42:43], s[44:45]             // in0 && in1
s_mov_b64 exec, s[46:47]                           // sgprs -> exec
_v_add_co_u32 v140, vcc, v130, v136                // addrVgpr = D + index*bytes (lo)
_v_addc_co_u32 v141, vcc, v131, v137, vcc          // addrVgpr = D + index*bytes (hi)
s_mov_b64 exec, -1                                 // full mask -1 -> exec

/* rC *= alpha batchElements=[(10, 0, 0, 0)] */
v_mul_f64 v[134:135], s[sgprAlpha+0:sgprAlpha+0+1], v[vgprValuC+36:vgprValuC+36+1] // 
v_mul_f64 v[136:137], s[sgprAlpha+2:sgprAlpha+2+1], v[vgprValuC+36:vgprValuC+36+1] // 
v_fma_f64 v[vgprValuC+148:vgprValuC+148+1], s[sgprAlpha+2:sgprAlpha+2+1], -v[vgprValuC+100:vgprValuC+100+1], v[134:135]
v_fma_f64 v[vgprValuC+148 +2:vgprValuC+148 +2+1], s[sgprAlpha+0:sgprAlpha+0+1], v[vgprValuC+100:vgprValuC+100+1], v[136:137]
s_waitcnt vmcnt(0)                                 // wait C

/* apply mask, calc new C and issue writes */
s_mov_b64 exec, s[46:47]                           // sgprs -> exec
v_fma_f64 v[vgprValuC+148:vgprValuC+148+1], v[144:145], s[sgprBeta+0:sgprBeta+0+1], v[vgprValuC+148:vgprValuC+148+1]
v_fma_f64 v[vgprValuC+148:vgprValuC+148+1], v[146:147], -s[sgprBeta+2:sgprBeta+2+1], v[vgprValuC+148:vgprValuC+148+1]
v_fma_f64 v[vgprValuC+150:vgprValuC+150+1], v[144:145], s[sgprBeta+2:sgprBeta+2+1], v[vgprValuC+150:vgprValuC+150+1]
v_fma_f64 v[vgprValuC+150:vgprValuC+150+1], v[146:147], s[sgprBeta+0:sgprBeta+0+1], v[vgprValuC+150:vgprValuC+150+1]
_global_store_b128 v[140:141], v[148:151], off     // store D
s_mov_b64 exec, -1                                 // full mask -> exec
s_nop 0                                            // 1 wait state required when next inst writes vgprs held by previous dwordx4 store inst
/* optSingleColVgpr=0 optSharedColVgpr=0 optSGPRUsage=None optSrdIncForRow=0 */

/******************************************/
/* Global Write Alpha Beta Edge Batch #21 (d1,d0,vc1,vc0) = */
/*    (10,1,0,0:vw1)                      */
/******************************************/

/* calc coords, apply mask, and issue loads (if necessary) */
/* (d1,vc1,d0,vc0)=(10,0,1,0) */
_v_add_co_u32 v134, vcc, v128, 64                  // coord0.1: coord0 += d0*sg0*VW + vc0
GLOBAL_OFFSET_C 140, 134, 129, sgprWorkGroup2, 136
v_mov_b32 v136, v140                               // temp store offset 0
v_mov_b32 v137, v141                               // temp store offset 1
v_cmp_lt_u32 s[42:43], v134, s[sgprSizesFree+0]    // coord0 < size0
v_cmp_lt_u32 s[44:45], v129, s[sgprSizesFree+1]    // coord1 < size1
s_and_b64 s[46:47], s[42:43], s[44:45]             // in0 && in1
s_mov_b64 exec, s[46:47]                           // sgprs -> exec
_v_add_co_u32 v140, vcc, v132, v136                // addrVgpr = C + index*bytes (lo)
_v_addc_co_u32 v141, vcc, v133, v137, vcc          // addrVgpr = C + index*bytes (hi)
_global_load_b128 v[144:147], v[140:141], off, offset:0 // load C for beta calc
GLOBAL_OFFSET_D 140, 134, 129, sgprWorkGroup2, 136
v_mov_b32 v136, v140                               // temp store offset 0
v_mov_b32 v137, v141                               // temp store offset 1
v_cmp_lt_u32 s[42:43], v134, s[sgprSizesFree+0]    // coord0 < size0
v_cmp_lt_u32 s[44:45], v129, s[sgprSizesFree+1]    // coord1 < size1
s_and_b64 s[46:47], s[42:43], s[44:45]             // in0 && in1
s_mov_b64 exec, s[46:47]                           // sgprs -> exec
_v_add_co_u32 v140, vcc, v130, v136                // addrVgpr = D + index*bytes (lo)
_v_addc_co_u32 v141, vcc, v131, v137, vcc          // addrVgpr = D + index*bytes (hi)
s_mov_b64 exec, -1                                 // full mask -1 -> exec

/* rC *= alpha batchElements=[(10, 1, 0, 0)] */
v_mul_f64 v[134:135], s[sgprAlpha+0:sgprAlpha+0+1], v[vgprValuC+44:vgprValuC+44+1] // 
v_mul_f64 v[136:137], s[sgprAlpha+2:sgprAlpha+2+1], v[vgprValuC+44:vgprValuC+44+1] // 
v_fma_f64 v[vgprValuC+148:vgprValuC+148+1], s[sgprAlpha+2:sgprAlpha+2+1], -v[vgprValuC+108:vgprValuC+108+1], v[134:135]
v_fma_f64 v[vgprValuC+148 +2:vgprValuC+148 +2+1], s[sgprAlpha+0:sgprAlpha+0+1], v[vgprValuC+108:vgprValuC+108+1], v[136:137]
s_waitcnt vmcnt(0)                                 // wait C

/* apply mask, calc new C and issue writes */
s_mov_b64 exec, s[46:47]                           // sgprs -> exec
v_fma_f64 v[vgprValuC+148:vgprValuC+148+1], v[144:145], s[sgprBeta+0:sgprBeta+0+1], v[vgprValuC+148:vgprValuC+148+1]
v_fma_f64 v[vgprValuC+148:vgprValuC+148+1], v[146:147], -s[sgprBeta+2:sgprBeta+2+1], v[vgprValuC+148:vgprValuC+148+1]
v_fma_f64 v[vgprValuC+150:vgprValuC+150+1], v[144:145], s[sgprBeta+2:sgprBeta+2+1], v[vgprValuC+150:vgprValuC+150+1]
v_fma_f64 v[vgprValuC+150:vgprValuC+150+1], v[146:147], s[sgprBeta+0:sgprBeta+0+1], v[vgprValuC+150:vgprValuC+150+1]
_global_store_b128 v[140:141], v[148:151], off     // store D
s_mov_b64 exec, -1                                 // full mask -> exec
s_nop 0                                            // 1 wait state required when next inst writes vgprs held by previous dwordx4 store inst
/* optSingleColVgpr=0 optSharedColVgpr=0 optSGPRUsage=None optSrdIncForRow=0 */

/******************************************/
/* Global Write Alpha Beta Edge Batch #22 (d1,d0,vc1,vc0) = */
/*    (11,0,0,0:vw1)                      */
/******************************************/

/* calc coords, apply mask, and issue loads (if necessary) */
/* (d1,vc1,d0,vc0)=(11,0,0,0) */
_v_add_co_u32 v129, vcc, v129, 4                   // coord1.1: coord1Vgpr += d1*sg1*VW + vc1
GLOBAL_OFFSET_C 140, 128, 129, sgprWorkGroup2, 136
v_mov_b32 v136, v140                               // temp store offset 0
v_mov_b32 v137, v141                               // temp store offset 1
v_cmp_lt_u32 s[42:43], v128, s[sgprSizesFree+0]    // coord0 < size0
v_cmp_lt_u32 s[44:45], v129, s[sgprSizesFree+1]    // coord1 < size1
s_and_b64 s[46:47], s[42:43], s[44:45]             // in0 && in1
s_mov_b64 exec, s[46:47]                           // sgprs -> exec
_v_add_co_u32 v140, vcc, v132, v136                // addrVgpr = C + index*bytes (lo)
_v_addc_co_u32 v141, vcc, v133, v137, vcc          // addrVgpr = C + index*bytes (hi)
_global_load_b128 v[144:147], v[140:141], off, offset:0 // load C for beta calc
GLOBAL_OFFSET_D 140, 128, 129, sgprWorkGroup2, 136
v_mov_b32 v136, v140                               // temp store offset 0
v_mov_b32 v137, v141                               // temp store offset 1
v_cmp_lt_u32 s[42:43], v128, s[sgprSizesFree+0]    // coord0 < size0
v_cmp_lt_u32 s[44:45], v129, s[sgprSizesFree+1]    // coord1 < size1
s_and_b64 s[46:47], s[42:43], s[44:45]             // in0 && in1
s_mov_b64 exec, s[46:47]                           // sgprs -> exec
_v_add_co_u32 v140, vcc, v130, v136                // addrVgpr = D + index*bytes (lo)
_v_addc_co_u32 v141, vcc, v131, v137, vcc          // addrVgpr = D + index*bytes (hi)
s_mov_b64 exec, -1                                 // full mask -1 -> exec

/* rC *= alpha batchElements=[(11, 0, 0, 0)] */
v_mul_f64 v[134:135], s[sgprAlpha+0:sgprAlpha+0+1], v[vgprValuC+38:vgprValuC+38+1] // 
v_mul_f64 v[136:137], s[sgprAlpha+2:sgprAlpha+2+1], v[vgprValuC+38:vgprValuC+38+1] // 
v_fma_f64 v[vgprValuC+148:vgprValuC+148+1], s[sgprAlpha+2:sgprAlpha+2+1], -v[vgprValuC+102:vgprValuC+102+1], v[134:135]
v_fma_f64 v[vgprValuC+148 +2:vgprValuC+148 +2+1], s[sgprAlpha+0:sgprAlpha+0+1], v[vgprValuC+102:vgprValuC+102+1], v[136:137]
s_waitcnt vmcnt(0)                                 // wait C

/* apply mask, calc new C and issue writes */
s_mov_b64 exec, s[46:47]                           // sgprs -> exec
v_fma_f64 v[vgprValuC+148:vgprValuC+148+1], v[144:145], s[sgprBeta+0:sgprBeta+0+1], v[vgprValuC+148:vgprValuC+148+1]
v_fma_f64 v[vgprValuC+148:vgprValuC+148+1], v[146:147], -s[sgprBeta+2:sgprBeta+2+1], v[vgprValuC+148:vgprValuC+148+1]
v_fma_f64 v[vgprValuC+150:vgprValuC+150+1], v[144:145], s[sgprBeta+2:sgprBeta+2+1], v[vgprValuC+150:vgprValuC+150+1]
v_fma_f64 v[vgprValuC+150:vgprValuC+150+1], v[146:147], s[sgprBeta+0:sgprBeta+0+1], v[vgprValuC+150:vgprValuC+150+1]
_global_store_b128 v[140:141], v[148:151], off     // store D
s_mov_b64 exec, -1                                 // full mask -> exec
s_nop 0                                            // 1 wait state required when next inst writes vgprs held by previous dwordx4 store inst
/* optSingleColVgpr=0 optSharedColVgpr=0 optSGPRUsage=None optSrdIncForRow=0 */

/******************************************/
/* Global Write Alpha Beta Edge Batch #23 (d1,d0,vc1,vc0) = */
/*    (11,1,0,0:vw1)                      */
/******************************************/

/* calc coords, apply mask, and issue loads (if necessary) */
/* (d1,vc1,d0,vc0)=(11,0,1,0) */
_v_add_co_u32 v134, vcc, v128, 64                  // coord0.1: coord0 += d0*sg0*VW + vc0
GLOBAL_OFFSET_C 140, 134, 129, sgprWorkGroup2, 136
v_mov_b32 v136, v140                               // temp store offset 0
v_mov_b32 v137, v141                               // temp store offset 1
v_cmp_lt_u32 s[42:43], v134, s[sgprSizesFree+0]    // coord0 < size0
v_cmp_lt_u32 s[44:45], v129, s[sgprSizesFree+1]    // coord1 < size1
s_and_b64 s[46:47], s[42:43], s[44:45]             // in0 && in1
s_mov_b64 exec, s[46:47]                           // sgprs -> exec
_v_add_co_u32 v140, vcc, v132, v136                // addrVgpr = C + index*bytes (lo)
_v_addc_co_u32 v141, vcc, v133, v137, vcc          // addrVgpr = C + index*bytes (hi)
_global_load_b128 v[144:147], v[140:141], off, offset:0 // load C for beta calc
GLOBAL_OFFSET_D 140, 134, 129, sgprWorkGroup2, 136
v_mov_b32 v136, v140                               // temp store offset 0
v_mov_b32 v137, v141                               // temp store offset 1
v_cmp_lt_u32 s[42:43], v134, s[sgprSizesFree+0]    // coord0 < size0
v_cmp_lt_u32 s[44:45], v129, s[sgprSizesFree+1]    // coord1 < size1
s_and_b64 s[46:47], s[42:43], s[44:45]             // in0 && in1
s_mov_b64 exec, s[46:47]                           // sgprs -> exec
_v_add_co_u32 v140, vcc, v130, v136                // addrVgpr = D + index*bytes (lo)
_v_addc_co_u32 v141, vcc, v131, v137, vcc          // addrVgpr = D + index*bytes (hi)
s_mov_b64 exec, -1                                 // full mask -1 -> exec

/* rC *= alpha batchElements=[(11, 1, 0, 0)] */
v_mul_f64 v[134:135], s[sgprAlpha+0:sgprAlpha+0+1], v[vgprValuC+46:vgprValuC+46+1] // 
v_mul_f64 v[136:137], s[sgprAlpha+2:sgprAlpha+2+1], v[vgprValuC+46:vgprValuC+46+1] // 
v_fma_f64 v[vgprValuC+148:vgprValuC+148+1], s[sgprAlpha+2:sgprAlpha+2+1], -v[vgprValuC+110:vgprValuC+110+1], v[134:135]
v_fma_f64 v[vgprValuC+148 +2:vgprValuC+148 +2+1], s[sgprAlpha+0:sgprAlpha+0+1], v[vgprValuC+110:vgprValuC+110+1], v[136:137]
s_waitcnt vmcnt(0)                                 // wait C

/* apply mask, calc new C and issue writes */
s_mov_b64 exec, s[46:47]                           // sgprs -> exec
v_fma_f64 v[vgprValuC+148:vgprValuC+148+1], v[144:145], s[sgprBeta+0:sgprBeta+0+1], v[vgprValuC+148:vgprValuC+148+1]
v_fma_f64 v[vgprValuC+148:vgprValuC+148+1], v[146:147], -s[sgprBeta+2:sgprBeta+2+1], v[vgprValuC+148:vgprValuC+148+1]
v_fma_f64 v[vgprValuC+150:vgprValuC+150+1], v[144:145], s[sgprBeta+2:sgprBeta+2+1], v[vgprValuC+150:vgprValuC+150+1]
v_fma_f64 v[vgprValuC+150:vgprValuC+150+1], v[146:147], s[sgprBeta+0:sgprBeta+0+1], v[vgprValuC+150:vgprValuC+150+1]
_global_store_b128 v[140:141], v[148:151], off     // store D
s_mov_b64 exec, -1                                 // full mask -> exec
s_nop 0                                            // 1 wait state required when next inst writes vgprs held by previous dwordx4 store inst
/* optSingleColVgpr=0 optSharedColVgpr=0 optSGPRUsage=None optSrdIncForRow=0 */

/******************************************/
/* Global Write Alpha Beta Edge Batch #24 (d1,d0,vc1,vc0) = */
/*    (12,0,0,0:vw1)                      */
/******************************************/

/* calc coords, apply mask, and issue loads (if necessary) */
/* (d1,vc1,d0,vc0)=(12,0,0,0) */
_v_add_co_u32 v129, vcc, v129, 4                   // coord1.1: coord1Vgpr += d1*sg1*VW + vc1
GLOBAL_OFFSET_C 140, 128, 129, sgprWorkGroup2, 136
v_mov_b32 v136, v140                               // temp store offset 0
v_mov_b32 v137, v141                               // temp store offset 1
v_cmp_lt_u32 s[42:43], v128, s[sgprSizesFree+0]    // coord0 < size0
v_cmp_lt_u32 s[44:45], v129, s[sgprSizesFree+1]    // coord1 < size1
s_and_b64 s[46:47], s[42:43], s[44:45]             // in0 && in1
s_mov_b64 exec, s[46:47]                           // sgprs -> exec
_v_add_co_u32 v140, vcc, v132, v136                // addrVgpr = C + index*bytes (lo)
_v_addc_co_u32 v141, vcc, v133, v137, vcc          // addrVgpr = C + index*bytes (hi)
_global_load_b128 v[144:147], v[140:141], off, offset:0 // load C for beta calc
GLOBAL_OFFSET_D 140, 128, 129, sgprWorkGroup2, 136
v_mov_b32 v136, v140                               // temp store offset 0
v_mov_b32 v137, v141                               // temp store offset 1
v_cmp_lt_u32 s[42:43], v128, s[sgprSizesFree+0]    // coord0 < size0
v_cmp_lt_u32 s[44:45], v129, s[sgprSizesFree+1]    // coord1 < size1
s_and_b64 s[46:47], s[42:43], s[44:45]             // in0 && in1
s_mov_b64 exec, s[46:47]                           // sgprs -> exec
_v_add_co_u32 v140, vcc, v130, v136                // addrVgpr = D + index*bytes (lo)
_v_addc_co_u32 v141, vcc, v131, v137, vcc          // addrVgpr = D + index*bytes (hi)
s_mov_b64 exec, -1                                 // full mask -1 -> exec

/* rC *= alpha batchElements=[(12, 0, 0, 0)] */
v_mul_f64 v[134:135], s[sgprAlpha+0:sgprAlpha+0+1], v[vgprValuC+48:vgprValuC+48+1] // 
v_mul_f64 v[136:137], s[sgprAlpha+2:sgprAlpha+2+1], v[vgprValuC+48:vgprValuC+48+1] // 
v_fma_f64 v[vgprValuC+148:vgprValuC+148+1], s[sgprAlpha+2:sgprAlpha+2+1], -v[vgprValuC+112:vgprValuC+112+1], v[134:135]
v_fma_f64 v[vgprValuC+148 +2:vgprValuC+148 +2+1], s[sgprAlpha+0:sgprAlpha+0+1], v[vgprValuC+112:vgprValuC+112+1], v[136:137]
s_waitcnt vmcnt(0)                                 // wait C

/* apply mask, calc new C and issue writes */
s_mov_b64 exec, s[46:47]                           // sgprs -> exec
v_fma_f64 v[vgprValuC+148:vgprValuC+148+1], v[144:145], s[sgprBeta+0:sgprBeta+0+1], v[vgprValuC+148:vgprValuC+148+1]
v_fma_f64 v[vgprValuC+148:vgprValuC+148+1], v[146:147], -s[sgprBeta+2:sgprBeta+2+1], v[vgprValuC+148:vgprValuC+148+1]
v_fma_f64 v[vgprValuC+150:vgprValuC+150+1], v[144:145], s[sgprBeta+2:sgprBeta+2+1], v[vgprValuC+150:vgprValuC+150+1]
v_fma_f64 v[vgprValuC+150:vgprValuC+150+1], v[146:147], s[sgprBeta+0:sgprBeta+0+1], v[vgprValuC+150:vgprValuC+150+1]
_global_store_b128 v[140:141], v[148:151], off     // store D
s_mov_b64 exec, -1                                 // full mask -> exec
s_nop 0                                            // 1 wait state required when next inst writes vgprs held by previous dwordx4 store inst
/* optSingleColVgpr=0 optSharedColVgpr=0 optSGPRUsage=None optSrdIncForRow=0 */

/******************************************/
/* Global Write Alpha Beta Edge Batch #25 (d1,d0,vc1,vc0) = */
/*    (12,1,0,0:vw1)                      */
/******************************************/

/* calc coords, apply mask, and issue loads (if necessary) */
/* (d1,vc1,d0,vc0)=(12,0,1,0) */
_v_add_co_u32 v134, vcc, v128, 64                  // coord0.1: coord0 += d0*sg0*VW + vc0
GLOBAL_OFFSET_C 140, 134, 129, sgprWorkGroup2, 136
v_mov_b32 v136, v140                               // temp store offset 0
v_mov_b32 v137, v141                               // temp store offset 1
v_cmp_lt_u32 s[42:43], v134, s[sgprSizesFree+0]    // coord0 < size0
v_cmp_lt_u32 s[44:45], v129, s[sgprSizesFree+1]    // coord1 < size1
s_and_b64 s[46:47], s[42:43], s[44:45]             // in0 && in1
s_mov_b64 exec, s[46:47]                           // sgprs -> exec
_v_add_co_u32 v140, vcc, v132, v136                // addrVgpr = C + index*bytes (lo)
_v_addc_co_u32 v141, vcc, v133, v137, vcc          // addrVgpr = C + index*bytes (hi)
_global_load_b128 v[144:147], v[140:141], off, offset:0 // load C for beta calc
GLOBAL_OFFSET_D 140, 134, 129, sgprWorkGroup2, 136
v_mov_b32 v136, v140                               // temp store offset 0
v_mov_b32 v137, v141                               // temp store offset 1
v_cmp_lt_u32 s[42:43], v134, s[sgprSizesFree+0]    // coord0 < size0
v_cmp_lt_u32 s[44:45], v129, s[sgprSizesFree+1]    // coord1 < size1
s_and_b64 s[46:47], s[42:43], s[44:45]             // in0 && in1
s_mov_b64 exec, s[46:47]                           // sgprs -> exec
_v_add_co_u32 v140, vcc, v130, v136                // addrVgpr = D + index*bytes (lo)
_v_addc_co_u32 v141, vcc, v131, v137, vcc          // addrVgpr = D + index*bytes (hi)
s_mov_b64 exec, -1                                 // full mask -1 -> exec

/* rC *= alpha batchElements=[(12, 1, 0, 0)] */
v_mul_f64 v[134:135], s[sgprAlpha+0:sgprAlpha+0+1], v[vgprValuC+56:vgprValuC+56+1] // 
v_mul_f64 v[136:137], s[sgprAlpha+2:sgprAlpha+2+1], v[vgprValuC+56:vgprValuC+56+1] // 
v_fma_f64 v[vgprValuC+148:vgprValuC+148+1], s[sgprAlpha+2:sgprAlpha+2+1], -v[vgprValuC+120:vgprValuC+120+1], v[134:135]
v_fma_f64 v[vgprValuC+148 +2:vgprValuC+148 +2+1], s[sgprAlpha+0:sgprAlpha+0+1], v[vgprValuC+120:vgprValuC+120+1], v[136:137]
s_waitcnt vmcnt(0)                                 // wait C

/* apply mask, calc new C and issue writes */
s_mov_b64 exec, s[46:47]                           // sgprs -> exec
v_fma_f64 v[vgprValuC+148:vgprValuC+148+1], v[144:145], s[sgprBeta+0:sgprBeta+0+1], v[vgprValuC+148:vgprValuC+148+1]
v_fma_f64 v[vgprValuC+148:vgprValuC+148+1], v[146:147], -s[sgprBeta+2:sgprBeta+2+1], v[vgprValuC+148:vgprValuC+148+1]
v_fma_f64 v[vgprValuC+150:vgprValuC+150+1], v[144:145], s[sgprBeta+2:sgprBeta+2+1], v[vgprValuC+150:vgprValuC+150+1]
v_fma_f64 v[vgprValuC+150:vgprValuC+150+1], v[146:147], s[sgprBeta+0:sgprBeta+0+1], v[vgprValuC+150:vgprValuC+150+1]
_global_store_b128 v[140:141], v[148:151], off     // store D
s_mov_b64 exec, -1                                 // full mask -> exec
s_nop 0                                            // 1 wait state required when next inst writes vgprs held by previous dwordx4 store inst
/* optSingleColVgpr=0 optSharedColVgpr=0 optSGPRUsage=None optSrdIncForRow=0 */

/******************************************/
/* Global Write Alpha Beta Edge Batch #26 (d1,d0,vc1,vc0) = */
/*    (13,0,0,0:vw1)                      */
/******************************************/

/* calc coords, apply mask, and issue loads (if necessary) */
/* (d1,vc1,d0,vc0)=(13,0,0,0) */
_v_add_co_u32 v129, vcc, v129, 4                   // coord1.1: coord1Vgpr += d1*sg1*VW + vc1
GLOBAL_OFFSET_C 140, 128, 129, sgprWorkGroup2, 136
v_mov_b32 v136, v140                               // temp store offset 0
v_mov_b32 v137, v141                               // temp store offset 1
v_cmp_lt_u32 s[42:43], v128, s[sgprSizesFree+0]    // coord0 < size0
v_cmp_lt_u32 s[44:45], v129, s[sgprSizesFree+1]    // coord1 < size1
s_and_b64 s[46:47], s[42:43], s[44:45]             // in0 && in1
s_mov_b64 exec, s[46:47]                           // sgprs -> exec
_v_add_co_u32 v140, vcc, v132, v136                // addrVgpr = C + index*bytes (lo)
_v_addc_co_u32 v141, vcc, v133, v137, vcc          // addrVgpr = C + index*bytes (hi)
_global_load_b128 v[144:147], v[140:141], off, offset:0 // load C for beta calc
GLOBAL_OFFSET_D 140, 128, 129, sgprWorkGroup2, 136
v_mov_b32 v136, v140                               // temp store offset 0
v_mov_b32 v137, v141                               // temp store offset 1
v_cmp_lt_u32 s[42:43], v128, s[sgprSizesFree+0]    // coord0 < size0
v_cmp_lt_u32 s[44:45], v129, s[sgprSizesFree+1]    // coord1 < size1
s_and_b64 s[46:47], s[42:43], s[44:45]             // in0 && in1
s_mov_b64 exec, s[46:47]                           // sgprs -> exec
_v_add_co_u32 v140, vcc, v130, v136                // addrVgpr = D + index*bytes (lo)
_v_addc_co_u32 v141, vcc, v131, v137, vcc          // addrVgpr = D + index*bytes (hi)
s_mov_b64 exec, -1                                 // full mask -1 -> exec

/* rC *= alpha batchElements=[(13, 0, 0, 0)] */
v_mul_f64 v[134:135], s[sgprAlpha+0:sgprAlpha+0+1], v[vgprValuC+50:vgprValuC+50+1] // 
v_mul_f64 v[136:137], s[sgprAlpha+2:sgprAlpha+2+1], v[vgprValuC+50:vgprValuC+50+1] // 
v_fma_f64 v[vgprValuC+148:vgprValuC+148+1], s[sgprAlpha+2:sgprAlpha+2+1], -v[vgprValuC+114:vgprValuC+114+1], v[134:135]
v_fma_f64 v[vgprValuC+148 +2:vgprValuC+148 +2+1], s[sgprAlpha+0:sgprAlpha+0+1], v[vgprValuC+114:vgprValuC+114+1], v[136:137]
s_waitcnt vmcnt(0)                                 // wait C

/* apply mask, calc new C and issue writes */
s_mov_b64 exec, s[46:47]                           // sgprs -> exec
v_fma_f64 v[vgprValuC+148:vgprValuC+148+1], v[144:145], s[sgprBeta+0:sgprBeta+0+1], v[vgprValuC+148:vgprValuC+148+1]
v_fma_f64 v[vgprValuC+148:vgprValuC+148+1], v[146:147], -s[sgprBeta+2:sgprBeta+2+1], v[vgprValuC+148:vgprValuC+148+1]
v_fma_f64 v[vgprValuC+150:vgprValuC+150+1], v[144:145], s[sgprBeta+2:sgprBeta+2+1], v[vgprValuC+150:vgprValuC+150+1]
v_fma_f64 v[vgprValuC+150:vgprValuC+150+1], v[146:147], s[sgprBeta+0:sgprBeta+0+1], v[vgprValuC+150:vgprValuC+150+1]
_global_store_b128 v[140:141], v[148:151], off     // store D
s_mov_b64 exec, -1                                 // full mask -> exec
s_nop 0                                            // 1 wait state required when next inst writes vgprs held by previous dwordx4 store inst
/* optSingleColVgpr=0 optSharedColVgpr=0 optSGPRUsage=None optSrdIncForRow=0 */

/******************************************/
/* Global Write Alpha Beta Edge Batch #27 (d1,d0,vc1,vc0) = */
/*    (13,1,0,0:vw1)                      */
/******************************************/

/* calc coords, apply mask, and issue loads (if necessary) */
/* (d1,vc1,d0,vc0)=(13,0,1,0) */
_v_add_co_u32 v134, vcc, v128, 64                  // coord0.1: coord0 += d0*sg0*VW + vc0
GLOBAL_OFFSET_C 140, 134, 129, sgprWorkGroup2, 136
v_mov_b32 v136, v140                               // temp store offset 0
v_mov_b32 v137, v141                               // temp store offset 1
v_cmp_lt_u32 s[42:43], v134, s[sgprSizesFree+0]    // coord0 < size0
v_cmp_lt_u32 s[44:45], v129, s[sgprSizesFree+1]    // coord1 < size1
s_and_b64 s[46:47], s[42:43], s[44:45]             // in0 && in1
s_mov_b64 exec, s[46:47]                           // sgprs -> exec
_v_add_co_u32 v140, vcc, v132, v136                // addrVgpr = C + index*bytes (lo)
_v_addc_co_u32 v141, vcc, v133, v137, vcc          // addrVgpr = C + index*bytes (hi)
_global_load_b128 v[144:147], v[140:141], off, offset:0 // load C for beta calc
GLOBAL_OFFSET_D 140, 134, 129, sgprWorkGroup2, 136
v_mov_b32 v136, v140                               // temp store offset 0
v_mov_b32 v137, v141                               // temp store offset 1
v_cmp_lt_u32 s[42:43], v134, s[sgprSizesFree+0]    // coord0 < size0
v_cmp_lt_u32 s[44:45], v129, s[sgprSizesFree+1]    // coord1 < size1
s_and_b64 s[46:47], s[42:43], s[44:45]             // in0 && in1
s_mov_b64 exec, s[46:47]                           // sgprs -> exec
_v_add_co_u32 v140, vcc, v130, v136                // addrVgpr = D + index*bytes (lo)
_v_addc_co_u32 v141, vcc, v131, v137, vcc          // addrVgpr = D + index*bytes (hi)
s_mov_b64 exec, -1                                 // full mask -1 -> exec

/* rC *= alpha batchElements=[(13, 1, 0, 0)] */
v_mul_f64 v[134:135], s[sgprAlpha+0:sgprAlpha+0+1], v[vgprValuC+58:vgprValuC+58+1] // 
v_mul_f64 v[136:137], s[sgprAlpha+2:sgprAlpha+2+1], v[vgprValuC+58:vgprValuC+58+1] // 
v_fma_f64 v[vgprValuC+148:vgprValuC+148+1], s[sgprAlpha+2:sgprAlpha+2+1], -v[vgprValuC+122:vgprValuC+122+1], v[134:135]
v_fma_f64 v[vgprValuC+148 +2:vgprValuC+148 +2+1], s[sgprAlpha+0:sgprAlpha+0+1], v[vgprValuC+122:vgprValuC+122+1], v[136:137]
s_waitcnt vmcnt(0)                                 // wait C

/* apply mask, calc new C and issue writes */
s_mov_b64 exec, s[46:47]                           // sgprs -> exec
v_fma_f64 v[vgprValuC+148:vgprValuC+148+1], v[144:145], s[sgprBeta+0:sgprBeta+0+1], v[vgprValuC+148:vgprValuC+148+1]
v_fma_f64 v[vgprValuC+148:vgprValuC+148+1], v[146:147], -s[sgprBeta+2:sgprBeta+2+1], v[vgprValuC+148:vgprValuC+148+1]
v_fma_f64 v[vgprValuC+150:vgprValuC+150+1], v[144:145], s[sgprBeta+2:sgprBeta+2+1], v[vgprValuC+150:vgprValuC+150+1]
v_fma_f64 v[vgprValuC+150:vgprValuC+150+1], v[146:147], s[sgprBeta+0:sgprBeta+0+1], v[vgprValuC+150:vgprValuC+150+1]
_global_store_b128 v[140:141], v[148:151], off     // store D
s_mov_b64 exec, -1                                 // full mask -> exec
s_nop 0                                            // 1 wait state required when next inst writes vgprs held by previous dwordx4 store inst
/* optSingleColVgpr=0 optSharedColVgpr=0 optSGPRUsage=None optSrdIncForRow=0 */

/******************************************/
/* Global Write Alpha Beta Edge Batch #28 (d1,d0,vc1,vc0) = */
/*    (14,0,0,0:vw1)                      */
/******************************************/

/* calc coords, apply mask, and issue loads (if necessary) */
/* (d1,vc1,d0,vc0)=(14,0,0,0) */
_v_add_co_u32 v129, vcc, v129, 4                   // coord1.1: coord1Vgpr += d1*sg1*VW + vc1
GLOBAL_OFFSET_C 140, 128, 129, sgprWorkGroup2, 136
v_mov_b32 v136, v140                               // temp store offset 0
v_mov_b32 v137, v141                               // temp store offset 1
v_cmp_lt_u32 s[42:43], v128, s[sgprSizesFree+0]    // coord0 < size0
v_cmp_lt_u32 s[44:45], v129, s[sgprSizesFree+1]    // coord1 < size1
s_and_b64 s[46:47], s[42:43], s[44:45]             // in0 && in1
s_mov_b64 exec, s[46:47]                           // sgprs -> exec
_v_add_co_u32 v140, vcc, v132, v136                // addrVgpr = C + index*bytes (lo)
_v_addc_co_u32 v141, vcc, v133, v137, vcc          // addrVgpr = C + index*bytes (hi)
_global_load_b128 v[144:147], v[140:141], off, offset:0 // load C for beta calc
GLOBAL_OFFSET_D 140, 128, 129, sgprWorkGroup2, 136
v_mov_b32 v136, v140                               // temp store offset 0
v_mov_b32 v137, v141                               // temp store offset 1
v_cmp_lt_u32 s[42:43], v128, s[sgprSizesFree+0]    // coord0 < size0
v_cmp_lt_u32 s[44:45], v129, s[sgprSizesFree+1]    // coord1 < size1
s_and_b64 s[46:47], s[42:43], s[44:45]             // in0 && in1
s_mov_b64 exec, s[46:47]                           // sgprs -> exec
_v_add_co_u32 v140, vcc, v130, v136                // addrVgpr = D + index*bytes (lo)
_v_addc_co_u32 v141, vcc, v131, v137, vcc          // addrVgpr = D + index*bytes (hi)
s_mov_b64 exec, -1                                 // full mask -1 -> exec

/* rC *= alpha batchElements=[(14, 0, 0, 0)] */
v_mul_f64 v[134:135], s[sgprAlpha+0:sgprAlpha+0+1], v[vgprValuC+52:vgprValuC+52+1] // 
v_mul_f64 v[136:137], s[sgprAlpha+2:sgprAlpha+2+1], v[vgprValuC+52:vgprValuC+52+1] // 
v_fma_f64 v[vgprValuC+148:vgprValuC+148+1], s[sgprAlpha+2:sgprAlpha+2+1], -v[vgprValuC+116:vgprValuC+116+1], v[134:135]
v_fma_f64 v[vgprValuC+148 +2:vgprValuC+148 +2+1], s[sgprAlpha+0:sgprAlpha+0+1], v[vgprValuC+116:vgprValuC+116+1], v[136:137]
s_waitcnt vmcnt(0)                                 // wait C

/* apply mask, calc new C and issue writes */
s_mov_b64 exec, s[46:47]                           // sgprs -> exec
v_fma_f64 v[vgprValuC+148:vgprValuC+148+1], v[144:145], s[sgprBeta+0:sgprBeta+0+1], v[vgprValuC+148:vgprValuC+148+1]
v_fma_f64 v[vgprValuC+148:vgprValuC+148+1], v[146:147], -s[sgprBeta+2:sgprBeta+2+1], v[vgprValuC+148:vgprValuC+148+1]
v_fma_f64 v[vgprValuC+150:vgprValuC+150+1], v[144:145], s[sgprBeta+2:sgprBeta+2+1], v[vgprValuC+150:vgprValuC+150+1]
v_fma_f64 v[vgprValuC+150:vgprValuC+150+1], v[146:147], s[sgprBeta+0:sgprBeta+0+1], v[vgprValuC+150:vgprValuC+150+1]
_global_store_b128 v[140:141], v[148:151], off     // store D
s_mov_b64 exec, -1                                 // full mask -> exec
s_nop 0                                            // 1 wait state required when next inst writes vgprs held by previous dwordx4 store inst
/* optSingleColVgpr=0 optSharedColVgpr=0 optSGPRUsage=None optSrdIncForRow=0 */

/******************************************/
/* Global Write Alpha Beta Edge Batch #29 (d1,d0,vc1,vc0) = */
/*    (14,1,0,0:vw1)                      */
/******************************************/

/* calc coords, apply mask, and issue loads (if necessary) */
/* (d1,vc1,d0,vc0)=(14,0,1,0) */
_v_add_co_u32 v134, vcc, v128, 64                  // coord0.1: coord0 += d0*sg0*VW + vc0
GLOBAL_OFFSET_C 140, 134, 129, sgprWorkGroup2, 136
v_mov_b32 v136, v140                               // temp store offset 0
v_mov_b32 v137, v141                               // temp store offset 1
v_cmp_lt_u32 s[42:43], v134, s[sgprSizesFree+0]    // coord0 < size0
v_cmp_lt_u32 s[44:45], v129, s[sgprSizesFree+1]    // coord1 < size1
s_and_b64 s[46:47], s[42:43], s[44:45]             // in0 && in1
s_mov_b64 exec, s[46:47]                           // sgprs -> exec
_v_add_co_u32 v140, vcc, v132, v136                // addrVgpr = C + index*bytes (lo)
_v_addc_co_u32 v141, vcc, v133, v137, vcc          // addrVgpr = C + index*bytes (hi)
_global_load_b128 v[144:147], v[140:141], off, offset:0 // load C for beta calc
GLOBAL_OFFSET_D 140, 134, 129, sgprWorkGroup2, 136
v_mov_b32 v136, v140                               // temp store offset 0
v_mov_b32 v137, v141                               // temp store offset 1
v_cmp_lt_u32 s[42:43], v134, s[sgprSizesFree+0]    // coord0 < size0
v_cmp_lt_u32 s[44:45], v129, s[sgprSizesFree+1]    // coord1 < size1
s_and_b64 s[46:47], s[42:43], s[44:45]             // in0 && in1
s_mov_b64 exec, s[46:47]                           // sgprs -> exec
_v_add_co_u32 v140, vcc, v130, v136                // addrVgpr = D + index*bytes (lo)
_v_addc_co_u32 v141, vcc, v131, v137, vcc          // addrVgpr = D + index*bytes (hi)
s_mov_b64 exec, -1                                 // full mask -1 -> exec

/* rC *= alpha batchElements=[(14, 1, 0, 0)] */
v_mul_f64 v[134:135], s[sgprAlpha+0:sgprAlpha+0+1], v[vgprValuC+60:vgprValuC+60+1] // 
v_mul_f64 v[136:137], s[sgprAlpha+2:sgprAlpha+2+1], v[vgprValuC+60:vgprValuC+60+1] // 
v_fma_f64 v[vgprValuC+148:vgprValuC+148+1], s[sgprAlpha+2:sgprAlpha+2+1], -v[vgprValuC+124:vgprValuC+124+1], v[134:135]
v_fma_f64 v[vgprValuC+148 +2:vgprValuC+148 +2+1], s[sgprAlpha+0:sgprAlpha+0+1], v[vgprValuC+124:vgprValuC+124+1], v[136:137]
s_waitcnt vmcnt(0)                                 // wait C

/* apply mask, calc new C and issue writes */
s_mov_b64 exec, s[46:47]                           // sgprs -> exec
v_fma_f64 v[vgprValuC+148:vgprValuC+148+1], v[144:145], s[sgprBeta+0:sgprBeta+0+1], v[vgprValuC+148:vgprValuC+148+1]
v_fma_f64 v[vgprValuC+148:vgprValuC+148+1], v[146:147], -s[sgprBeta+2:sgprBeta+2+1], v[vgprValuC+148:vgprValuC+148+1]
v_fma_f64 v[vgprValuC+150:vgprValuC+150+1], v[144:145], s[sgprBeta+2:sgprBeta+2+1], v[vgprValuC+150:vgprValuC+150+1]
v_fma_f64 v[vgprValuC+150:vgprValuC+150+1], v[146:147], s[sgprBeta+0:sgprBeta+0+1], v[vgprValuC+150:vgprValuC+150+1]
_global_store_b128 v[140:141], v[148:151], off     // store D
s_mov_b64 exec, -1                                 // full mask -> exec
s_nop 0                                            // 1 wait state required when next inst writes vgprs held by previous dwordx4 store inst
/* optSingleColVgpr=0 optSharedColVgpr=0 optSGPRUsage=None optSrdIncForRow=0 */

/******************************************/
/* Global Write Alpha Beta Edge Batch #30 (d1,d0,vc1,vc0) = */
/*    (15,0,0,0:vw1)                      */
/******************************************/

/* calc coords, apply mask, and issue loads (if necessary) */
/* (d1,vc1,d0,vc0)=(15,0,0,0) */
_v_add_co_u32 v129, vcc, v129, 4                   // coord1.1: coord1Vgpr += d1*sg1*VW + vc1
GLOBAL_OFFSET_C 140, 128, 129, sgprWorkGroup2, 136
v_mov_b32 v136, v140                               // temp store offset 0
v_mov_b32 v137, v141                               // temp store offset 1
v_cmp_lt_u32 s[42:43], v128, s[sgprSizesFree+0]    // coord0 < size0
v_cmp_lt_u32 s[44:45], v129, s[sgprSizesFree+1]    // coord1 < size1
s_and_b64 s[46:47], s[42:43], s[44:45]             // in0 && in1
s_mov_b64 exec, s[46:47]                           // sgprs -> exec
_v_add_co_u32 v140, vcc, v132, v136                // addrVgpr = C + index*bytes (lo)
_v_addc_co_u32 v141, vcc, v133, v137, vcc          // addrVgpr = C + index*bytes (hi)
_global_load_b128 v[144:147], v[140:141], off, offset:0 // load C for beta calc
GLOBAL_OFFSET_D 140, 128, 129, sgprWorkGroup2, 136
v_mov_b32 v136, v140                               // temp store offset 0
v_mov_b32 v137, v141                               // temp store offset 1
v_cmp_lt_u32 s[42:43], v128, s[sgprSizesFree+0]    // coord0 < size0
v_cmp_lt_u32 s[44:45], v129, s[sgprSizesFree+1]    // coord1 < size1
s_and_b64 s[46:47], s[42:43], s[44:45]             // in0 && in1
s_mov_b64 exec, s[46:47]                           // sgprs -> exec
_v_add_co_u32 v140, vcc, v130, v136                // addrVgpr = D + index*bytes (lo)
_v_addc_co_u32 v141, vcc, v131, v137, vcc          // addrVgpr = D + index*bytes (hi)
s_mov_b64 exec, -1                                 // full mask -1 -> exec

/* rC *= alpha batchElements=[(15, 0, 0, 0)] */
v_mul_f64 v[134:135], s[sgprAlpha+0:sgprAlpha+0+1], v[vgprValuC+54:vgprValuC+54+1] // 
v_mul_f64 v[136:137], s[sgprAlpha+2:sgprAlpha+2+1], v[vgprValuC+54:vgprValuC+54+1] // 
v_fma_f64 v[vgprValuC+148:vgprValuC+148+1], s[sgprAlpha+2:sgprAlpha+2+1], -v[vgprValuC+118:vgprValuC+118+1], v[134:135]
v_fma_f64 v[vgprValuC+148 +2:vgprValuC+148 +2+1], s[sgprAlpha+0:sgprAlpha+0+1], v[vgprValuC+118:vgprValuC+118+1], v[136:137]
s_waitcnt vmcnt(0)                                 // wait C

/* apply mask, calc new C and issue writes */
s_mov_b64 exec, s[46:47]                           // sgprs -> exec
v_fma_f64 v[vgprValuC+148:vgprValuC+148+1], v[144:145], s[sgprBeta+0:sgprBeta+0+1], v[vgprValuC+148:vgprValuC+148+1]
v_fma_f64 v[vgprValuC+148:vgprValuC+148+1], v[146:147], -s[sgprBeta+2:sgprBeta+2+1], v[vgprValuC+148:vgprValuC+148+1]
v_fma_f64 v[vgprValuC+150:vgprValuC+150+1], v[144:145], s[sgprBeta+2:sgprBeta+2+1], v[vgprValuC+150:vgprValuC+150+1]
v_fma_f64 v[vgprValuC+150:vgprValuC+150+1], v[146:147], s[sgprBeta+0:sgprBeta+0+1], v[vgprValuC+150:vgprValuC+150+1]
_global_store_b128 v[140:141], v[148:151], off     // store D
s_mov_b64 exec, -1                                 // full mask -> exec
s_nop 0                                            // 1 wait state required when next inst writes vgprs held by previous dwordx4 store inst
/* optSingleColVgpr=0 optSharedColVgpr=0 optSGPRUsage=None optSrdIncForRow=0 */

/******************************************/
/* Global Write Alpha Beta Edge Batch #31 (d1,d0,vc1,vc0) = */
/*    (15,1,0,0:vw1)                      */
/******************************************/

/* calc coords, apply mask, and issue loads (if necessary) */
/* (d1,vc1,d0,vc0)=(15,0,1,0) */
_v_add_co_u32 v134, vcc, v128, 64                  // coord0.1: coord0 += d0*sg0*VW + vc0
GLOBAL_OFFSET_C 140, 134, 129, sgprWorkGroup2, 136
v_mov_b32 v136, v140                               // temp store offset 0
v_mov_b32 v137, v141                               // temp store offset 1
v_cmp_lt_u32 s[42:43], v134, s[sgprSizesFree+0]    // coord0 < size0
v_cmp_lt_u32 s[44:45], v129, s[sgprSizesFree+1]    // coord1 < size1
s_and_b64 s[46:47], s[42:43], s[44:45]             // in0 && in1
s_mov_b64 exec, s[46:47]                           // sgprs -> exec
_v_add_co_u32 v140, vcc, v132, v136                // addrVgpr = C + index*bytes (lo)
_v_addc_co_u32 v141, vcc, v133, v137, vcc          // addrVgpr = C + index*bytes (hi)
_global_load_b128 v[144:147], v[140:141], off, offset:0 // load C for beta calc
GLOBAL_OFFSET_D 140, 134, 129, sgprWorkGroup2, 136
v_mov_b32 v136, v140                               // temp store offset 0
v_mov_b32 v137, v141                               // temp store offset 1
v_cmp_lt_u32 s[42:43], v134, s[sgprSizesFree+0]    // coord0 < size0
v_cmp_lt_u32 s[44:45], v129, s[sgprSizesFree+1]    // coord1 < size1
s_and_b64 s[46:47], s[42:43], s[44:45]             // in0 && in1
s_mov_b64 exec, s[46:47]                           // sgprs -> exec
_v_add_co_u32 v140, vcc, v130, v136                // addrVgpr = D + index*bytes (lo)
_v_addc_co_u32 v141, vcc, v131, v137, vcc          // addrVgpr = D + index*bytes (hi)
s_mov_b64 exec, -1                                 // full mask -1 -> exec

/* rC *= alpha batchElements=[(15, 1, 0, 0)] */
v_mul_f64 v[134:135], s[sgprAlpha+0:sgprAlpha+0+1], v[vgprValuC+62:vgprValuC+62+1] // 
v_mul_f64 v[136:137], s[sgprAlpha+2:sgprAlpha+2+1], v[vgprValuC+62:vgprValuC+62+1] // 
v_fma_f64 v[vgprValuC+148:vgprValuC+148+1], s[sgprAlpha+2:sgprAlpha+2+1], -v[vgprValuC+126:vgprValuC+126+1], v[134:135]
v_fma_f64 v[vgprValuC+148 +2:vgprValuC+148 +2+1], s[sgprAlpha+0:sgprAlpha+0+1], v[vgprValuC+126:vgprValuC+126+1], v[136:137]
s_waitcnt vmcnt(0)                                 // wait C

/* apply mask, calc new C and issue writes */
s_mov_b64 exec, s[46:47]                           // sgprs -> exec
v_fma_f64 v[vgprValuC+148:vgprValuC+148+1], v[144:145], s[sgprBeta+0:sgprBeta+0+1], v[vgprValuC+148:vgprValuC+148+1]
v_fma_f64 v[vgprValuC+148:vgprValuC+148+1], v[146:147], -s[sgprBeta+2:sgprBeta+2+1], v[vgprValuC+148:vgprValuC+148+1]
v_fma_f64 v[vgprValuC+150:vgprValuC+150+1], v[144:145], s[sgprBeta+2:sgprBeta+2+1], v[vgprValuC+150:vgprValuC+150+1]
v_fma_f64 v[vgprValuC+150:vgprValuC+150+1], v[146:147], s[sgprBeta+0:sgprBeta+0+1], v[vgprValuC+150:vgprValuC+150+1]
_global_store_b128 v[140:141], v[148:151], off     // store D
s_mov_b64 exec, -1                                 // full mask -> exec
s_nop 0                                            // 1 wait state required when next inst writes vgprs held by previous dwordx4 store inst
s_branch label_GW_End_37                           // jump to end
label_GW_End_37:

label_0042:  /// KernelEnd
s_endpgm                                           // Kernel End

